;; amdgpu-corpus repo=zjin-lcf/HeCBench kind=compiled arch=gfx950 opt=O3
	.amdgcn_target "amdgcn-amd-amdhsa--gfx950"
	.amdhsa_code_object_version 6
	.text
	.p2align	2                               ; -- Begin function __ockl_fprintf_append_string_n
	.type	__ockl_fprintf_append_string_n,@function
__ockl_fprintf_append_string_n:         ; @__ockl_fprintf_append_string_n
; %bb.0:
	s_waitcnt vmcnt(0) expcnt(0) lgkmcnt(0)
	v_mov_b32_e32 v9, v3
	v_mov_b32_e32 v8, v2
	v_or_b32_e32 v2, 2, v0
	v_cmp_eq_u32_e32 vcc, 0, v6
	s_mov_b32 s18, 0
	s_mov_b64 s[2:3], 0
	v_cndmask_b32_e32 v0, v2, v0, vcc
	v_cmp_ne_u64_e32 vcc, 0, v[8:9]
	v_mbcnt_lo_u32_b32 v2, -1, 0
	s_and_saveexec_b64 s[0:1], vcc
	s_xor_b64 s[4:5], exec, s[0:1]
	s_cbranch_execz .LBB0_86
; %bb.1:
	s_load_dwordx2 s[6:7], s[8:9], 0x50
	v_and_b32_e32 v6, 2, v0
	v_mov_b32_e32 v31, 0
	v_and_b32_e32 v0, -3, v0
	v_mbcnt_hi_u32_b32 v32, -1, v2
	s_movk_i32 s19, 0x1e0
	v_mov_b32_e32 v12, 2
	v_mov_b32_e32 v13, 1
	s_branch .LBB0_3
.LBB0_2:                                ;   in Loop: Header=BB0_3 Depth=1
	s_or_b64 exec, exec, s[12:13]
	v_sub_co_u32_e32 v4, vcc, v4, v34
	v_lshl_add_u64 v[8:9], v[8:9], 0, v[34:35]
	s_nop 0
	v_subb_co_u32_e32 v5, vcc, v5, v35, vcc
	v_cmp_eq_u64_e32 vcc, 0, v[4:5]
	s_or_b64 s[2:3], vcc, s[2:3]
	s_andn2_b64 exec, exec, s[2:3]
	s_cbranch_execz .LBB0_85
.LBB0_3:                                ; =>This Loop Header: Depth=1
                                        ;     Child Loop BB0_6 Depth 2
                                        ;     Child Loop BB0_14 Depth 2
	;; [unrolled: 1-line block ×11, first 2 shown]
	v_cmp_gt_u64_e32 vcc, 56, v[4:5]
	v_lshl_add_u64 v[16:17], v[8:9], 0, 8
	s_nop 0
	v_cndmask_b32_e32 v35, 0, v5, vcc
	v_cndmask_b32_e32 v34, 56, v4, vcc
	v_cmp_gt_u64_e32 vcc, 8, v[4:5]
	s_and_saveexec_b64 s[0:1], vcc
	s_xor_b64 s[0:1], exec, s[0:1]
	s_cbranch_execz .LBB0_9
; %bb.4:                                ;   in Loop: Header=BB0_3 Depth=1
	s_waitcnt vmcnt(0)
	v_mov_b64_e32 v[2:3], 0
	v_cmp_ne_u64_e32 vcc, 0, v[4:5]
	s_and_saveexec_b64 s[10:11], vcc
	s_cbranch_execz .LBB0_8
; %bb.5:                                ;   in Loop: Header=BB0_3 Depth=1
	v_lshlrev_b64 v[10:11], 3, v[34:35]
	s_mov_b64 s[12:13], 0
	v_mov_b64_e32 v[2:3], 0
	v_mov_b64_e32 v[14:15], v[8:9]
	s_mov_b64 s[14:15], 0
.LBB0_6:                                ;   Parent Loop BB0_3 Depth=1
                                        ; =>  This Inner Loop Header: Depth=2
	global_load_ubyte v7, v[14:15], off
	v_mov_b32_e32 v17, s18
	v_lshl_add_u64 v[14:15], v[14:15], 0, 1
	s_waitcnt vmcnt(0)
	v_and_b32_e32 v16, 0xffff, v7
	v_lshlrev_b64 v[16:17], s14, v[16:17]
	s_add_u32 s14, s14, 8
	s_addc_u32 s15, s15, 0
	v_cmp_eq_u32_e32 vcc, s14, v10
	v_or_b32_e32 v3, v17, v3
	s_or_b64 s[12:13], vcc, s[12:13]
	v_or_b32_e32 v2, v16, v2
	s_andn2_b64 exec, exec, s[12:13]
	s_cbranch_execnz .LBB0_6
; %bb.7:                                ;   in Loop: Header=BB0_3 Depth=1
	s_or_b64 exec, exec, s[12:13]
.LBB0_8:                                ;   in Loop: Header=BB0_3 Depth=1
	s_or_b64 exec, exec, s[10:11]
	v_mov_b64_e32 v[16:17], v[8:9]
.LBB0_9:                                ;   in Loop: Header=BB0_3 Depth=1
	s_or_saveexec_b64 s[0:1], s[0:1]
	v_mov_b32_e32 v7, 0
	s_xor_b64 exec, exec, s[0:1]
	s_cbranch_execz .LBB0_11
; %bb.10:                               ;   in Loop: Header=BB0_3 Depth=1
	global_load_dwordx2 v[2:3], v[8:9], off
	v_add_u32_e32 v7, -8, v34
.LBB0_11:                               ;   in Loop: Header=BB0_3 Depth=1
	s_or_b64 exec, exec, s[0:1]
	v_cmp_gt_u32_e32 vcc, 8, v7
	v_lshl_add_u64 v[10:11], v[16:17], 0, 8
                                        ; implicit-def: $vgpr14_vgpr15
	s_and_saveexec_b64 s[0:1], vcc
	s_xor_b64 s[0:1], exec, s[0:1]
	s_cbranch_execz .LBB0_17
; %bb.12:                               ;   in Loop: Header=BB0_3 Depth=1
	v_cmp_ne_u32_e32 vcc, 0, v7
	v_mov_b64_e32 v[14:15], 0
	s_and_saveexec_b64 s[10:11], vcc
	s_cbranch_execz .LBB0_16
; %bb.13:                               ;   in Loop: Header=BB0_3 Depth=1
	s_mov_b64 s[12:13], 0
	v_mov_b64_e32 v[14:15], 0
	s_mov_b64 s[14:15], 0
	s_mov_b64 s[16:17], 0
.LBB0_14:                               ;   Parent Loop BB0_3 Depth=1
                                        ; =>  This Inner Loop Header: Depth=2
	v_lshl_add_u64 v[10:11], v[16:17], 0, s[16:17]
	global_load_ubyte v10, v[10:11], off
	s_add_u32 s16, s16, 1
	v_mov_b32_e32 v11, s18
	s_addc_u32 s17, s17, 0
	v_cmp_eq_u32_e32 vcc, s16, v7
	s_waitcnt vmcnt(0)
	v_and_b32_e32 v10, 0xffff, v10
	v_lshlrev_b64 v[10:11], s14, v[10:11]
	s_add_u32 s14, s14, 8
	s_addc_u32 s15, s15, 0
	v_or_b32_e32 v15, v11, v15
	s_or_b64 s[12:13], vcc, s[12:13]
	v_or_b32_e32 v14, v10, v14
	s_andn2_b64 exec, exec, s[12:13]
	s_cbranch_execnz .LBB0_14
; %bb.15:                               ;   in Loop: Header=BB0_3 Depth=1
	s_or_b64 exec, exec, s[12:13]
.LBB0_16:                               ;   in Loop: Header=BB0_3 Depth=1
	s_or_b64 exec, exec, s[10:11]
	v_mov_b64_e32 v[10:11], v[16:17]
                                        ; implicit-def: $vgpr7
.LBB0_17:                               ;   in Loop: Header=BB0_3 Depth=1
	s_or_saveexec_b64 s[0:1], s[0:1]
	v_mov_b32_e32 v18, 0
	s_xor_b64 exec, exec, s[0:1]
	s_cbranch_execz .LBB0_19
; %bb.18:                               ;   in Loop: Header=BB0_3 Depth=1
	global_load_dwordx2 v[14:15], v[16:17], off
	v_add_u32_e32 v18, -8, v7
.LBB0_19:                               ;   in Loop: Header=BB0_3 Depth=1
	s_or_b64 exec, exec, s[0:1]
	v_cmp_gt_u32_e32 vcc, 8, v18
	v_lshl_add_u64 v[20:21], v[10:11], 0, 8
	s_and_saveexec_b64 s[0:1], vcc
	s_xor_b64 s[0:1], exec, s[0:1]
	s_cbranch_execz .LBB0_25
; %bb.20:                               ;   in Loop: Header=BB0_3 Depth=1
	v_cmp_ne_u32_e32 vcc, 0, v18
	v_mov_b64_e32 v[16:17], 0
	s_and_saveexec_b64 s[10:11], vcc
	s_cbranch_execz .LBB0_24
; %bb.21:                               ;   in Loop: Header=BB0_3 Depth=1
	s_mov_b64 s[12:13], 0
	v_mov_b64_e32 v[16:17], 0
	s_mov_b64 s[14:15], 0
	s_mov_b64 s[16:17], 0
.LBB0_22:                               ;   Parent Loop BB0_3 Depth=1
                                        ; =>  This Inner Loop Header: Depth=2
	v_lshl_add_u64 v[20:21], v[10:11], 0, s[16:17]
	global_load_ubyte v7, v[20:21], off
	s_add_u32 s16, s16, 1
	v_mov_b32_e32 v21, s18
	s_addc_u32 s17, s17, 0
	v_cmp_eq_u32_e32 vcc, s16, v18
	s_waitcnt vmcnt(0)
	v_and_b32_e32 v20, 0xffff, v7
	v_lshlrev_b64 v[20:21], s14, v[20:21]
	s_add_u32 s14, s14, 8
	s_addc_u32 s15, s15, 0
	v_or_b32_e32 v17, v21, v17
	s_or_b64 s[12:13], vcc, s[12:13]
	v_or_b32_e32 v16, v20, v16
	s_andn2_b64 exec, exec, s[12:13]
	s_cbranch_execnz .LBB0_22
; %bb.23:                               ;   in Loop: Header=BB0_3 Depth=1
	s_or_b64 exec, exec, s[12:13]
.LBB0_24:                               ;   in Loop: Header=BB0_3 Depth=1
	s_or_b64 exec, exec, s[10:11]
	v_mov_b64_e32 v[20:21], v[10:11]
                                        ; implicit-def: $vgpr18
.LBB0_25:                               ;   in Loop: Header=BB0_3 Depth=1
	s_or_saveexec_b64 s[0:1], s[0:1]
	v_mov_b32_e32 v7, 0
	s_xor_b64 exec, exec, s[0:1]
	s_cbranch_execz .LBB0_27
; %bb.26:                               ;   in Loop: Header=BB0_3 Depth=1
	global_load_dwordx2 v[16:17], v[10:11], off
	v_add_u32_e32 v7, -8, v18
.LBB0_27:                               ;   in Loop: Header=BB0_3 Depth=1
	s_or_b64 exec, exec, s[0:1]
	v_cmp_gt_u32_e32 vcc, 8, v7
	v_lshl_add_u64 v[10:11], v[20:21], 0, 8
                                        ; implicit-def: $vgpr18_vgpr19
	s_and_saveexec_b64 s[0:1], vcc
	s_xor_b64 s[0:1], exec, s[0:1]
	s_cbranch_execz .LBB0_33
; %bb.28:                               ;   in Loop: Header=BB0_3 Depth=1
	v_cmp_ne_u32_e32 vcc, 0, v7
	v_mov_b64_e32 v[18:19], 0
	s_and_saveexec_b64 s[10:11], vcc
	s_cbranch_execz .LBB0_32
; %bb.29:                               ;   in Loop: Header=BB0_3 Depth=1
	s_mov_b64 s[12:13], 0
	v_mov_b64_e32 v[18:19], 0
	s_mov_b64 s[14:15], 0
	s_mov_b64 s[16:17], 0
.LBB0_30:                               ;   Parent Loop BB0_3 Depth=1
                                        ; =>  This Inner Loop Header: Depth=2
	v_lshl_add_u64 v[10:11], v[20:21], 0, s[16:17]
	global_load_ubyte v10, v[10:11], off
	s_add_u32 s16, s16, 1
	v_mov_b32_e32 v11, s18
	s_addc_u32 s17, s17, 0
	v_cmp_eq_u32_e32 vcc, s16, v7
	s_waitcnt vmcnt(0)
	v_and_b32_e32 v10, 0xffff, v10
	v_lshlrev_b64 v[10:11], s14, v[10:11]
	s_add_u32 s14, s14, 8
	s_addc_u32 s15, s15, 0
	v_or_b32_e32 v19, v11, v19
	s_or_b64 s[12:13], vcc, s[12:13]
	v_or_b32_e32 v18, v10, v18
	s_andn2_b64 exec, exec, s[12:13]
	s_cbranch_execnz .LBB0_30
; %bb.31:                               ;   in Loop: Header=BB0_3 Depth=1
	s_or_b64 exec, exec, s[12:13]
.LBB0_32:                               ;   in Loop: Header=BB0_3 Depth=1
	s_or_b64 exec, exec, s[10:11]
	v_mov_b64_e32 v[10:11], v[20:21]
                                        ; implicit-def: $vgpr7
.LBB0_33:                               ;   in Loop: Header=BB0_3 Depth=1
	s_or_saveexec_b64 s[0:1], s[0:1]
	v_mov_b32_e32 v22, 0
	s_xor_b64 exec, exec, s[0:1]
	s_cbranch_execz .LBB0_35
; %bb.34:                               ;   in Loop: Header=BB0_3 Depth=1
	global_load_dwordx2 v[18:19], v[20:21], off
	v_add_u32_e32 v22, -8, v7
.LBB0_35:                               ;   in Loop: Header=BB0_3 Depth=1
	s_or_b64 exec, exec, s[0:1]
	v_cmp_gt_u32_e32 vcc, 8, v22
	v_lshl_add_u64 v[24:25], v[10:11], 0, 8
	s_and_saveexec_b64 s[0:1], vcc
	s_xor_b64 s[0:1], exec, s[0:1]
	s_cbranch_execz .LBB0_41
; %bb.36:                               ;   in Loop: Header=BB0_3 Depth=1
	v_cmp_ne_u32_e32 vcc, 0, v22
	v_mov_b64_e32 v[20:21], 0
	s_and_saveexec_b64 s[10:11], vcc
	s_cbranch_execz .LBB0_40
; %bb.37:                               ;   in Loop: Header=BB0_3 Depth=1
	s_mov_b64 s[12:13], 0
	v_mov_b64_e32 v[20:21], 0
	s_mov_b64 s[14:15], 0
	s_mov_b64 s[16:17], 0
.LBB0_38:                               ;   Parent Loop BB0_3 Depth=1
                                        ; =>  This Inner Loop Header: Depth=2
	v_lshl_add_u64 v[24:25], v[10:11], 0, s[16:17]
	global_load_ubyte v7, v[24:25], off
	s_add_u32 s16, s16, 1
	v_mov_b32_e32 v25, s18
	s_addc_u32 s17, s17, 0
	v_cmp_eq_u32_e32 vcc, s16, v22
	s_waitcnt vmcnt(0)
	v_and_b32_e32 v24, 0xffff, v7
	v_lshlrev_b64 v[24:25], s14, v[24:25]
	s_add_u32 s14, s14, 8
	s_addc_u32 s15, s15, 0
	v_or_b32_e32 v21, v25, v21
	s_or_b64 s[12:13], vcc, s[12:13]
	v_or_b32_e32 v20, v24, v20
	s_andn2_b64 exec, exec, s[12:13]
	s_cbranch_execnz .LBB0_38
; %bb.39:                               ;   in Loop: Header=BB0_3 Depth=1
	s_or_b64 exec, exec, s[12:13]
.LBB0_40:                               ;   in Loop: Header=BB0_3 Depth=1
	s_or_b64 exec, exec, s[10:11]
	v_mov_b64_e32 v[24:25], v[10:11]
                                        ; implicit-def: $vgpr22
.LBB0_41:                               ;   in Loop: Header=BB0_3 Depth=1
	s_or_saveexec_b64 s[0:1], s[0:1]
	v_mov_b32_e32 v7, 0
	s_xor_b64 exec, exec, s[0:1]
	s_cbranch_execz .LBB0_43
; %bb.42:                               ;   in Loop: Header=BB0_3 Depth=1
	global_load_dwordx2 v[20:21], v[10:11], off
	v_add_u32_e32 v7, -8, v22
.LBB0_43:                               ;   in Loop: Header=BB0_3 Depth=1
	s_or_b64 exec, exec, s[0:1]
	v_cmp_gt_u32_e32 vcc, 8, v7
	v_lshl_add_u64 v[10:11], v[24:25], 0, 8
                                        ; implicit-def: $vgpr22_vgpr23
	s_and_saveexec_b64 s[0:1], vcc
	s_xor_b64 s[0:1], exec, s[0:1]
	s_cbranch_execz .LBB0_49
; %bb.44:                               ;   in Loop: Header=BB0_3 Depth=1
	v_cmp_ne_u32_e32 vcc, 0, v7
	v_mov_b64_e32 v[22:23], 0
	s_and_saveexec_b64 s[10:11], vcc
	s_cbranch_execz .LBB0_48
; %bb.45:                               ;   in Loop: Header=BB0_3 Depth=1
	s_mov_b64 s[12:13], 0
	v_mov_b64_e32 v[22:23], 0
	s_mov_b64 s[14:15], 0
	s_mov_b64 s[16:17], 0
.LBB0_46:                               ;   Parent Loop BB0_3 Depth=1
                                        ; =>  This Inner Loop Header: Depth=2
	v_lshl_add_u64 v[10:11], v[24:25], 0, s[16:17]
	global_load_ubyte v10, v[10:11], off
	s_add_u32 s16, s16, 1
	v_mov_b32_e32 v11, s18
	s_addc_u32 s17, s17, 0
	v_cmp_eq_u32_e32 vcc, s16, v7
	s_waitcnt vmcnt(0)
	v_and_b32_e32 v10, 0xffff, v10
	v_lshlrev_b64 v[10:11], s14, v[10:11]
	s_add_u32 s14, s14, 8
	s_addc_u32 s15, s15, 0
	v_or_b32_e32 v23, v11, v23
	s_or_b64 s[12:13], vcc, s[12:13]
	v_or_b32_e32 v22, v10, v22
	s_andn2_b64 exec, exec, s[12:13]
	s_cbranch_execnz .LBB0_46
; %bb.47:                               ;   in Loop: Header=BB0_3 Depth=1
	s_or_b64 exec, exec, s[12:13]
.LBB0_48:                               ;   in Loop: Header=BB0_3 Depth=1
	s_or_b64 exec, exec, s[10:11]
	v_mov_b64_e32 v[10:11], v[24:25]
                                        ; implicit-def: $vgpr7
.LBB0_49:                               ;   in Loop: Header=BB0_3 Depth=1
	s_or_saveexec_b64 s[0:1], s[0:1]
	v_mov_b32_e32 v26, 0
	s_xor_b64 exec, exec, s[0:1]
	s_cbranch_execz .LBB0_51
; %bb.50:                               ;   in Loop: Header=BB0_3 Depth=1
	global_load_dwordx2 v[22:23], v[24:25], off
	v_add_u32_e32 v26, -8, v7
.LBB0_51:                               ;   in Loop: Header=BB0_3 Depth=1
	s_or_b64 exec, exec, s[0:1]
	v_cmp_gt_u32_e32 vcc, 8, v26
	s_and_saveexec_b64 s[0:1], vcc
	s_xor_b64 s[0:1], exec, s[0:1]
	s_cbranch_execz .LBB0_57
; %bb.52:                               ;   in Loop: Header=BB0_3 Depth=1
	v_cmp_ne_u32_e32 vcc, 0, v26
	v_mov_b64_e32 v[24:25], 0
	s_and_saveexec_b64 s[10:11], vcc
	s_cbranch_execz .LBB0_56
; %bb.53:                               ;   in Loop: Header=BB0_3 Depth=1
	s_mov_b64 s[12:13], 0
	v_mov_b64_e32 v[24:25], 0
	s_mov_b64 s[14:15], 0
.LBB0_54:                               ;   Parent Loop BB0_3 Depth=1
                                        ; =>  This Inner Loop Header: Depth=2
	global_load_ubyte v7, v[10:11], off
	v_mov_b32_e32 v29, s18
	v_add_u32_e32 v26, -1, v26
	v_cmp_eq_u32_e32 vcc, 0, v26
	v_lshl_add_u64 v[10:11], v[10:11], 0, 1
	s_waitcnt vmcnt(0)
	v_and_b32_e32 v28, 0xffff, v7
	v_lshlrev_b64 v[28:29], s14, v[28:29]
	s_add_u32 s14, s14, 8
	s_addc_u32 s15, s15, 0
	v_or_b32_e32 v25, v29, v25
	s_or_b64 s[12:13], vcc, s[12:13]
	v_or_b32_e32 v24, v28, v24
	s_andn2_b64 exec, exec, s[12:13]
	s_cbranch_execnz .LBB0_54
; %bb.55:                               ;   in Loop: Header=BB0_3 Depth=1
	s_or_b64 exec, exec, s[12:13]
.LBB0_56:                               ;   in Loop: Header=BB0_3 Depth=1
	s_or_b64 exec, exec, s[10:11]
                                        ; implicit-def: $vgpr10_vgpr11
.LBB0_57:                               ;   in Loop: Header=BB0_3 Depth=1
	s_andn2_saveexec_b64 s[0:1], s[0:1]
	s_cbranch_execz .LBB0_59
; %bb.58:                               ;   in Loop: Header=BB0_3 Depth=1
	global_load_dwordx2 v[24:25], v[10:11], off
.LBB0_59:                               ;   in Loop: Header=BB0_3 Depth=1
	s_or_b64 exec, exec, s[0:1]
	v_readfirstlane_b32 s0, v32
	v_mov_b64_e32 v[10:11], 0
	s_nop 0
	v_cmp_eq_u32_e64 s[0:1], s0, v32
	s_and_saveexec_b64 s[10:11], s[0:1]
	s_cbranch_execz .LBB0_65
; %bb.60:                               ;   in Loop: Header=BB0_3 Depth=1
	s_waitcnt lgkmcnt(0)
	global_load_dwordx2 v[28:29], v31, s[6:7] offset:24 sc0 sc1
	s_waitcnt vmcnt(0)
	buffer_inv sc0 sc1
	global_load_dwordx2 v[10:11], v31, s[6:7] offset:40
	global_load_dwordx2 v[26:27], v31, s[6:7]
	s_waitcnt vmcnt(1)
	v_and_b32_e32 v7, v10, v28
	v_and_b32_e32 v10, v11, v29
	v_mul_lo_u32 v10, v10, 24
	v_mul_hi_u32 v11, v7, 24
	v_add_u32_e32 v11, v11, v10
	v_mul_lo_u32 v10, v7, 24
	s_waitcnt vmcnt(0)
	v_lshl_add_u64 v[10:11], v[26:27], 0, v[10:11]
	global_load_dwordx2 v[26:27], v[10:11], off sc0 sc1
	s_waitcnt vmcnt(0)
	global_atomic_cmpswap_x2 v[10:11], v31, v[26:29], s[6:7] offset:24 sc0 sc1
	s_waitcnt vmcnt(0)
	buffer_inv sc0 sc1
	v_cmp_ne_u64_e32 vcc, v[10:11], v[28:29]
	s_and_saveexec_b64 s[12:13], vcc
	s_cbranch_execz .LBB0_64
; %bb.61:                               ;   in Loop: Header=BB0_3 Depth=1
	s_mov_b64 s[14:15], 0
.LBB0_62:                               ;   Parent Loop BB0_3 Depth=1
                                        ; =>  This Inner Loop Header: Depth=2
	s_sleep 1
	global_load_dwordx2 v[26:27], v31, s[6:7] offset:40
	global_load_dwordx2 v[36:37], v31, s[6:7]
	v_mov_b64_e32 v[28:29], v[10:11]
	s_waitcnt vmcnt(1)
	v_and_b32_e32 v10, v26, v28
	s_waitcnt vmcnt(0)
	v_mad_u64_u32 v[10:11], s[16:17], v10, 24, v[36:37]
	v_and_b32_e32 v7, v27, v29
	v_mov_b32_e32 v26, v11
	v_mad_u64_u32 v[26:27], s[16:17], v7, 24, v[26:27]
	v_mov_b32_e32 v11, v26
	global_load_dwordx2 v[26:27], v[10:11], off sc0 sc1
	s_waitcnt vmcnt(0)
	global_atomic_cmpswap_x2 v[10:11], v31, v[26:29], s[6:7] offset:24 sc0 sc1
	s_waitcnt vmcnt(0)
	buffer_inv sc0 sc1
	v_cmp_eq_u64_e32 vcc, v[10:11], v[28:29]
	s_or_b64 s[14:15], vcc, s[14:15]
	s_andn2_b64 exec, exec, s[14:15]
	s_cbranch_execnz .LBB0_62
; %bb.63:                               ;   in Loop: Header=BB0_3 Depth=1
	s_or_b64 exec, exec, s[14:15]
.LBB0_64:                               ;   in Loop: Header=BB0_3 Depth=1
	s_or_b64 exec, exec, s[12:13]
.LBB0_65:                               ;   in Loop: Header=BB0_3 Depth=1
	s_or_b64 exec, exec, s[10:11]
	s_waitcnt lgkmcnt(0)
	global_load_dwordx2 v[36:37], v31, s[6:7] offset:40
	global_load_dwordx4 v[26:29], v31, s[6:7]
	v_readfirstlane_b32 s11, v11
	v_readfirstlane_b32 s10, v10
	s_mov_b64 s[12:13], exec
	s_waitcnt vmcnt(1)
	v_readfirstlane_b32 s14, v36
	v_readfirstlane_b32 s15, v37
	s_and_b64 s[14:15], s[14:15], s[10:11]
	s_mul_i32 s16, s15, 24
	s_mul_hi_u32 s17, s14, 24
	s_add_i32 s17, s17, s16
	s_mul_i32 s16, s14, 24
	s_waitcnt vmcnt(0)
	v_lshl_add_u64 v[36:37], v[26:27], 0, s[16:17]
	s_and_saveexec_b64 s[16:17], s[0:1]
	s_cbranch_execz .LBB0_67
; %bb.66:                               ;   in Loop: Header=BB0_3 Depth=1
	v_mov_b64_e32 v[10:11], s[12:13]
	global_store_dwordx4 v[36:37], v[10:13], off offset:8
.LBB0_67:                               ;   in Loop: Header=BB0_3 Depth=1
	s_or_b64 exec, exec, s[16:17]
	v_cmp_gt_u64_e32 vcc, 57, v[4:5]
	s_lshl_b64 s[12:13], s[14:15], 12
	v_and_b32_e32 v0, 0xffffff1f, v0
	v_cndmask_b32_e32 v7, 0, v6, vcc
	v_lshl_add_u64 v[10:11], v[28:29], 0, s[12:13]
	v_lshl_add_u32 v28, v34, 2, 28
	v_or_b32_e32 v0, v0, v7
	v_and_or_b32 v0, v28, s19, v0
	v_lshlrev_b32_e32 v30, 6, v32
	v_readfirstlane_b32 s12, v10
	v_readfirstlane_b32 s13, v11
	s_nop 4
	global_store_dwordx4 v30, v[0:3], s[12:13]
	global_store_dwordx4 v30, v[14:17], s[12:13] offset:16
	global_store_dwordx4 v30, v[18:21], s[12:13] offset:32
	;; [unrolled: 1-line block ×3, first 2 shown]
	s_and_saveexec_b64 s[12:13], s[0:1]
	s_cbranch_execz .LBB0_75
; %bb.68:                               ;   in Loop: Header=BB0_3 Depth=1
	global_load_dwordx2 v[18:19], v31, s[6:7] offset:32 sc0 sc1
	global_load_dwordx2 v[0:1], v31, s[6:7] offset:40
	v_mov_b32_e32 v16, s10
	v_mov_b32_e32 v17, s11
	s_waitcnt vmcnt(0)
	v_readfirstlane_b32 s14, v0
	v_readfirstlane_b32 s15, v1
	s_and_b64 s[14:15], s[14:15], s[10:11]
	s_mul_i32 s15, s15, 24
	s_mul_hi_u32 s16, s14, 24
	s_mul_i32 s14, s14, 24
	s_add_i32 s15, s16, s15
	v_lshl_add_u64 v[14:15], v[26:27], 0, s[14:15]
	global_store_dwordx2 v[14:15], v[18:19], off
	buffer_wbl2 sc0 sc1
	s_waitcnt vmcnt(0)
	global_atomic_cmpswap_x2 v[2:3], v31, v[16:19], s[6:7] offset:32 sc0 sc1
	s_waitcnt vmcnt(0)
	v_cmp_ne_u64_e32 vcc, v[2:3], v[18:19]
	s_and_saveexec_b64 s[14:15], vcc
	s_cbranch_execz .LBB0_71
; %bb.69:                               ;   in Loop: Header=BB0_3 Depth=1
	s_mov_b64 s[16:17], 0
.LBB0_70:                               ;   Parent Loop BB0_3 Depth=1
                                        ; =>  This Inner Loop Header: Depth=2
	s_sleep 1
	global_store_dwordx2 v[14:15], v[2:3], off
	v_mov_b32_e32 v0, s10
	v_mov_b32_e32 v1, s11
	buffer_wbl2 sc0 sc1
	s_waitcnt vmcnt(0)
	global_atomic_cmpswap_x2 v[0:1], v31, v[0:3], s[6:7] offset:32 sc0 sc1
	s_waitcnt vmcnt(0)
	v_cmp_eq_u64_e32 vcc, v[0:1], v[2:3]
	s_or_b64 s[16:17], vcc, s[16:17]
	v_mov_b64_e32 v[2:3], v[0:1]
	s_andn2_b64 exec, exec, s[16:17]
	s_cbranch_execnz .LBB0_70
.LBB0_71:                               ;   in Loop: Header=BB0_3 Depth=1
	s_or_b64 exec, exec, s[14:15]
	global_load_dwordx2 v[0:1], v31, s[6:7] offset:16
	s_mov_b64 s[16:17], exec
	v_mbcnt_lo_u32_b32 v2, s16, 0
	v_mbcnt_hi_u32_b32 v2, s17, v2
	v_cmp_eq_u32_e32 vcc, 0, v2
	s_and_saveexec_b64 s[14:15], vcc
	s_cbranch_execz .LBB0_73
; %bb.72:                               ;   in Loop: Header=BB0_3 Depth=1
	s_bcnt1_i32_b64 s16, s[16:17]
	v_mov_b32_e32 v2, s16
	v_mov_b32_e32 v3, v31
	buffer_wbl2 sc0 sc1
	s_waitcnt vmcnt(0)
	global_atomic_add_x2 v[0:1], v[2:3], off offset:8 sc1
.LBB0_73:                               ;   in Loop: Header=BB0_3 Depth=1
	s_or_b64 exec, exec, s[14:15]
	s_waitcnt vmcnt(0)
	global_load_dwordx2 v[2:3], v[0:1], off offset:16
	s_waitcnt vmcnt(0)
	v_cmp_eq_u64_e32 vcc, 0, v[2:3]
	s_cbranch_vccnz .LBB0_75
; %bb.74:                               ;   in Loop: Header=BB0_3 Depth=1
	global_load_dword v0, v[0:1], off offset:24
	v_mov_b32_e32 v1, v31
	s_waitcnt vmcnt(0)
	v_readfirstlane_b32 s14, v0
	s_and_b32 m0, s14, 0xffffff
	buffer_wbl2 sc0 sc1
	global_store_dwordx2 v[2:3], v[0:1], off sc0 sc1
	s_sendmsg sendmsg(MSG_INTERRUPT)
.LBB0_75:                               ;   in Loop: Header=BB0_3 Depth=1
	s_or_b64 exec, exec, s[12:13]
	v_lshl_add_u64 v[0:1], v[10:11], 0, v[30:31]
	s_branch .LBB0_79
.LBB0_76:                               ;   in Loop: Header=BB0_79 Depth=2
	s_or_b64 exec, exec, s[12:13]
	v_readfirstlane_b32 s12, v2
	s_cmp_eq_u32 s12, 0
	s_cbranch_scc1 .LBB0_78
; %bb.77:                               ;   in Loop: Header=BB0_79 Depth=2
	s_sleep 1
	s_cbranch_execnz .LBB0_79
	s_branch .LBB0_81
.LBB0_78:                               ;   in Loop: Header=BB0_3 Depth=1
	s_branch .LBB0_81
.LBB0_79:                               ;   Parent Loop BB0_3 Depth=1
                                        ; =>  This Inner Loop Header: Depth=2
	v_mov_b32_e32 v2, 1
	s_and_saveexec_b64 s[12:13], s[0:1]
	s_cbranch_execz .LBB0_76
; %bb.80:                               ;   in Loop: Header=BB0_79 Depth=2
	global_load_dword v2, v[36:37], off offset:20 sc0 sc1
	s_waitcnt vmcnt(0)
	buffer_inv sc0 sc1
	v_and_b32_e32 v2, 1, v2
	s_branch .LBB0_76
.LBB0_81:                               ;   in Loop: Header=BB0_3 Depth=1
	global_load_dwordx4 v[0:3], v[0:1], off
	s_and_saveexec_b64 s[12:13], s[0:1]
	s_cbranch_execz .LBB0_2
; %bb.82:                               ;   in Loop: Header=BB0_3 Depth=1
	global_load_dwordx2 v[2:3], v31, s[6:7] offset:40
	global_load_dwordx2 v[18:19], v31, s[6:7] offset:24 sc0 sc1
	global_load_dwordx2 v[10:11], v31, s[6:7]
	s_waitcnt vmcnt(2)
	v_readfirstlane_b32 s14, v2
	v_readfirstlane_b32 s15, v3
	s_add_u32 s16, s14, 1
	s_addc_u32 s17, s15, 0
	s_add_u32 s0, s16, s10
	s_addc_u32 s1, s17, s11
	s_cmp_eq_u64 s[0:1], 0
	s_cselect_b32 s1, s17, s1
	s_cselect_b32 s0, s16, s0
	s_and_b64 s[10:11], s[0:1], s[14:15]
	s_mul_i32 s11, s11, 24
	s_mul_hi_u32 s14, s10, 24
	s_mul_i32 s10, s10, 24
	s_add_i32 s11, s14, s11
	s_waitcnt vmcnt(0)
	v_lshl_add_u64 v[2:3], v[10:11], 0, s[10:11]
	v_mov_b32_e32 v16, s0
	global_store_dwordx2 v[2:3], v[18:19], off
	v_mov_b32_e32 v17, s1
	buffer_wbl2 sc0 sc1
	s_waitcnt vmcnt(0)
	global_atomic_cmpswap_x2 v[16:17], v31, v[16:19], s[6:7] offset:24 sc0 sc1
	s_waitcnt vmcnt(0)
	v_cmp_ne_u64_e32 vcc, v[16:17], v[18:19]
	s_and_b64 exec, exec, vcc
	s_cbranch_execz .LBB0_2
; %bb.83:                               ;   in Loop: Header=BB0_3 Depth=1
	s_mov_b64 s[10:11], 0
.LBB0_84:                               ;   Parent Loop BB0_3 Depth=1
                                        ; =>  This Inner Loop Header: Depth=2
	s_sleep 1
	global_store_dwordx2 v[2:3], v[16:17], off
	v_mov_b32_e32 v14, s0
	v_mov_b32_e32 v15, s1
	buffer_wbl2 sc0 sc1
	s_waitcnt vmcnt(0)
	global_atomic_cmpswap_x2 v[10:11], v31, v[14:17], s[6:7] offset:24 sc0 sc1
	s_waitcnt vmcnt(0)
	v_cmp_eq_u64_e32 vcc, v[10:11], v[16:17]
	s_or_b64 s[10:11], vcc, s[10:11]
	v_mov_b64_e32 v[16:17], v[10:11]
	s_andn2_b64 exec, exec, s[10:11]
	s_cbranch_execnz .LBB0_84
	s_branch .LBB0_2
.LBB0_85:
	s_or_b64 exec, exec, s[2:3]
                                        ; implicit-def: $vgpr0
                                        ; implicit-def: $vgpr1
                                        ; implicit-def: $vgpr2
.LBB0_86:
	s_andn2_saveexec_b64 s[2:3], s[4:5]
	s_cbranch_execz .LBB0_109
; %bb.87:
	s_load_dwordx2 s[4:5], s[8:9], 0x50
	s_waitcnt vmcnt(0)
	v_mbcnt_hi_u32_b32 v3, -1, v2
	v_mov_b64_e32 v[8:9], 0
	v_readfirstlane_b32 s0, v3
	s_nop 1
	v_cmp_eq_u32_e64 s[0:1], s0, v3
	s_and_saveexec_b64 s[6:7], s[0:1]
	s_cbranch_execz .LBB0_93
; %bb.88:
	v_mov_b32_e32 v2, 0
	s_waitcnt lgkmcnt(0)
	global_load_dwordx2 v[6:7], v2, s[4:5] offset:24 sc0 sc1
	s_waitcnt vmcnt(0)
	buffer_inv sc0 sc1
	global_load_dwordx2 v[4:5], v2, s[4:5] offset:40
	global_load_dwordx2 v[8:9], v2, s[4:5]
	s_waitcnt vmcnt(1)
	v_and_b32_e32 v4, v4, v6
	v_and_b32_e32 v5, v5, v7
	v_mul_lo_u32 v5, v5, 24
	v_mul_hi_u32 v10, v4, 24
	v_add_u32_e32 v5, v10, v5
	v_mul_lo_u32 v4, v4, 24
	s_waitcnt vmcnt(0)
	v_lshl_add_u64 v[4:5], v[8:9], 0, v[4:5]
	global_load_dwordx2 v[4:5], v[4:5], off sc0 sc1
	s_waitcnt vmcnt(0)
	global_atomic_cmpswap_x2 v[8:9], v2, v[4:7], s[4:5] offset:24 sc0 sc1
	s_waitcnt vmcnt(0)
	buffer_inv sc0 sc1
	v_cmp_ne_u64_e32 vcc, v[8:9], v[6:7]
	s_and_saveexec_b64 s[8:9], vcc
	s_cbranch_execz .LBB0_92
; %bb.89:
	s_mov_b64 s[10:11], 0
.LBB0_90:                               ; =>This Inner Loop Header: Depth=1
	s_sleep 1
	global_load_dwordx2 v[4:5], v2, s[4:5] offset:40
	global_load_dwordx2 v[10:11], v2, s[4:5]
	v_mov_b64_e32 v[6:7], v[8:9]
	s_waitcnt vmcnt(1)
	v_and_b32_e32 v4, v4, v6
	v_and_b32_e32 v9, v5, v7
	s_waitcnt vmcnt(0)
	v_mad_u64_u32 v[4:5], s[12:13], v4, 24, v[10:11]
	v_mov_b32_e32 v8, v5
	v_mad_u64_u32 v[8:9], s[12:13], v9, 24, v[8:9]
	v_mov_b32_e32 v5, v8
	global_load_dwordx2 v[4:5], v[4:5], off sc0 sc1
	s_waitcnt vmcnt(0)
	global_atomic_cmpswap_x2 v[8:9], v2, v[4:7], s[4:5] offset:24 sc0 sc1
	s_waitcnt vmcnt(0)
	buffer_inv sc0 sc1
	v_cmp_eq_u64_e32 vcc, v[8:9], v[6:7]
	s_or_b64 s[10:11], vcc, s[10:11]
	s_andn2_b64 exec, exec, s[10:11]
	s_cbranch_execnz .LBB0_90
; %bb.91:
	s_or_b64 exec, exec, s[10:11]
.LBB0_92:
	s_or_b64 exec, exec, s[8:9]
.LBB0_93:
	s_or_b64 exec, exec, s[6:7]
	v_mov_b32_e32 v2, 0
	s_waitcnt lgkmcnt(0)
	global_load_dwordx2 v[10:11], v2, s[4:5] offset:40
	global_load_dwordx4 v[4:7], v2, s[4:5]
	v_readfirstlane_b32 s7, v9
	v_readfirstlane_b32 s6, v8
	s_mov_b64 s[8:9], exec
	s_waitcnt vmcnt(1)
	v_readfirstlane_b32 s10, v10
	v_readfirstlane_b32 s11, v11
	s_and_b64 s[10:11], s[10:11], s[6:7]
	s_mul_i32 s12, s11, 24
	s_mul_hi_u32 s13, s10, 24
	s_add_i32 s13, s13, s12
	s_mul_i32 s12, s10, 24
	s_waitcnt vmcnt(0)
	v_lshl_add_u64 v[8:9], v[4:5], 0, s[12:13]
	s_and_saveexec_b64 s[12:13], s[0:1]
	s_cbranch_execz .LBB0_95
; %bb.94:
	v_mov_b64_e32 v[10:11], s[8:9]
	v_mov_b32_e32 v12, 2
	v_mov_b32_e32 v13, 1
	global_store_dwordx4 v[8:9], v[10:13], off offset:8
.LBB0_95:
	s_or_b64 exec, exec, s[12:13]
	s_lshl_b64 s[8:9], s[10:11], 12
	v_lshl_add_u64 v[6:7], v[6:7], 0, s[8:9]
	s_movk_i32 s8, 0xff1f
	v_and_or_b32 v0, v0, s8, 32
	s_mov_b32 s8, 0
	v_lshlrev_b32_e32 v10, 6, v3
	v_mov_b32_e32 v3, v2
	v_readfirstlane_b32 s12, v6
	v_readfirstlane_b32 s13, v7
	s_mov_b32 s9, s8
	s_mov_b32 s10, s8
	;; [unrolled: 1-line block ×3, first 2 shown]
	s_nop 1
	global_store_dwordx4 v10, v[0:3], s[12:13]
	s_nop 1
	v_mov_b64_e32 v[0:1], s[8:9]
	v_mov_b64_e32 v[2:3], s[10:11]
	global_store_dwordx4 v10, v[0:3], s[12:13] offset:16
	global_store_dwordx4 v10, v[0:3], s[12:13] offset:32
	;; [unrolled: 1-line block ×3, first 2 shown]
	s_and_saveexec_b64 s[8:9], s[0:1]
	s_cbranch_execz .LBB0_103
; %bb.96:
	v_mov_b32_e32 v6, 0
	global_load_dwordx2 v[12:13], v6, s[4:5] offset:32 sc0 sc1
	global_load_dwordx2 v[0:1], v6, s[4:5] offset:40
	v_mov_b32_e32 v10, s6
	v_mov_b32_e32 v11, s7
	s_waitcnt vmcnt(0)
	v_and_b32_e32 v0, s6, v0
	v_and_b32_e32 v1, s7, v1
	v_mul_lo_u32 v1, v1, 24
	v_mul_hi_u32 v2, v0, 24
	v_mul_lo_u32 v0, v0, 24
	v_add_u32_e32 v1, v2, v1
	v_lshl_add_u64 v[4:5], v[4:5], 0, v[0:1]
	global_store_dwordx2 v[4:5], v[12:13], off
	buffer_wbl2 sc0 sc1
	s_waitcnt vmcnt(0)
	global_atomic_cmpswap_x2 v[2:3], v6, v[10:13], s[4:5] offset:32 sc0 sc1
	s_waitcnt vmcnt(0)
	v_cmp_ne_u64_e32 vcc, v[2:3], v[12:13]
	s_and_saveexec_b64 s[10:11], vcc
	s_cbranch_execz .LBB0_99
; %bb.97:
	s_mov_b64 s[12:13], 0
.LBB0_98:                               ; =>This Inner Loop Header: Depth=1
	s_sleep 1
	global_store_dwordx2 v[4:5], v[2:3], off
	v_mov_b32_e32 v0, s6
	v_mov_b32_e32 v1, s7
	buffer_wbl2 sc0 sc1
	s_waitcnt vmcnt(0)
	global_atomic_cmpswap_x2 v[0:1], v6, v[0:3], s[4:5] offset:32 sc0 sc1
	s_waitcnt vmcnt(0)
	v_cmp_eq_u64_e32 vcc, v[0:1], v[2:3]
	s_or_b64 s[12:13], vcc, s[12:13]
	v_mov_b64_e32 v[2:3], v[0:1]
	s_andn2_b64 exec, exec, s[12:13]
	s_cbranch_execnz .LBB0_98
.LBB0_99:
	s_or_b64 exec, exec, s[10:11]
	v_mov_b32_e32 v3, 0
	global_load_dwordx2 v[0:1], v3, s[4:5] offset:16
	s_mov_b64 s[10:11], exec
	v_mbcnt_lo_u32_b32 v2, s10, 0
	v_mbcnt_hi_u32_b32 v2, s11, v2
	v_cmp_eq_u32_e32 vcc, 0, v2
	s_and_saveexec_b64 s[12:13], vcc
	s_cbranch_execz .LBB0_101
; %bb.100:
	s_bcnt1_i32_b64 s10, s[10:11]
	v_mov_b32_e32 v2, s10
	buffer_wbl2 sc0 sc1
	s_waitcnt vmcnt(0)
	global_atomic_add_x2 v[0:1], v[2:3], off offset:8 sc1
.LBB0_101:
	s_or_b64 exec, exec, s[12:13]
	s_waitcnt vmcnt(0)
	global_load_dwordx2 v[2:3], v[0:1], off offset:16
	s_waitcnt vmcnt(0)
	v_cmp_eq_u64_e32 vcc, 0, v[2:3]
	s_cbranch_vccnz .LBB0_103
; %bb.102:
	global_load_dword v0, v[0:1], off offset:24
	v_mov_b32_e32 v1, 0
	s_waitcnt vmcnt(0)
	v_readfirstlane_b32 s10, v0
	s_and_b32 m0, s10, 0xffffff
	buffer_wbl2 sc0 sc1
	global_store_dwordx2 v[2:3], v[0:1], off sc0 sc1
	s_sendmsg sendmsg(MSG_INTERRUPT)
.LBB0_103:
	s_or_b64 exec, exec, s[8:9]
	s_branch .LBB0_107
.LBB0_104:                              ;   in Loop: Header=BB0_107 Depth=1
	s_or_b64 exec, exec, s[8:9]
	v_readfirstlane_b32 s8, v0
	s_cmp_eq_u32 s8, 0
	s_cbranch_scc1 .LBB0_106
; %bb.105:                              ;   in Loop: Header=BB0_107 Depth=1
	s_sleep 1
	s_cbranch_execnz .LBB0_107
	s_branch .LBB0_110
.LBB0_106:
	s_branch .LBB0_110
.LBB0_107:                              ; =>This Inner Loop Header: Depth=1
	v_mov_b32_e32 v0, 1
	s_and_saveexec_b64 s[8:9], s[0:1]
	s_cbranch_execz .LBB0_104
; %bb.108:                              ;   in Loop: Header=BB0_107 Depth=1
	global_load_dword v0, v[8:9], off offset:20 sc0 sc1
	s_waitcnt vmcnt(0)
	buffer_inv sc0 sc1
	v_and_b32_e32 v0, 1, v0
	s_branch .LBB0_104
.LBB0_109:
	s_or_b64 exec, exec, s[2:3]
	s_waitcnt vmcnt(0) lgkmcnt(0)
	s_setpc_b64 s[30:31]
.LBB0_110:
	s_and_saveexec_b64 s[8:9], s[0:1]
	s_cbranch_execz .LBB0_113
; %bb.111:
	v_mov_b32_e32 v6, 0
	global_load_dwordx2 v[0:1], v6, s[4:5] offset:40
	global_load_dwordx2 v[10:11], v6, s[4:5] offset:24 sc0 sc1
	global_load_dwordx2 v[2:3], v6, s[4:5]
	s_waitcnt vmcnt(2)
	v_readfirstlane_b32 s10, v0
	v_readfirstlane_b32 s11, v1
	s_add_u32 s12, s10, 1
	s_addc_u32 s13, s11, 0
	s_add_u32 s0, s12, s6
	s_addc_u32 s1, s13, s7
	s_cmp_eq_u64 s[0:1], 0
	s_cselect_b32 s1, s13, s1
	s_cselect_b32 s0, s12, s0
	s_and_b64 s[6:7], s[0:1], s[10:11]
	s_mul_i32 s7, s7, 24
	s_mul_hi_u32 s10, s6, 24
	s_mul_i32 s6, s6, 24
	s_add_i32 s7, s10, s7
	s_waitcnt vmcnt(0)
	v_lshl_add_u64 v[4:5], v[2:3], 0, s[6:7]
	v_mov_b32_e32 v8, s0
	global_store_dwordx2 v[4:5], v[10:11], off
	v_mov_b32_e32 v9, s1
	buffer_wbl2 sc0 sc1
	s_waitcnt vmcnt(0)
	global_atomic_cmpswap_x2 v[2:3], v6, v[8:11], s[4:5] offset:24 sc0 sc1
	s_mov_b64 s[6:7], 0
	s_waitcnt vmcnt(0)
	v_cmp_ne_u64_e32 vcc, v[2:3], v[10:11]
	s_and_b64 exec, exec, vcc
	s_cbranch_execz .LBB0_113
.LBB0_112:                              ; =>This Inner Loop Header: Depth=1
	s_sleep 1
	global_store_dwordx2 v[4:5], v[2:3], off
	v_mov_b32_e32 v0, s0
	v_mov_b32_e32 v1, s1
	buffer_wbl2 sc0 sc1
	s_waitcnt vmcnt(0)
	global_atomic_cmpswap_x2 v[0:1], v6, v[0:3], s[4:5] offset:24 sc0 sc1
	s_waitcnt vmcnt(0)
	v_cmp_eq_u64_e32 vcc, v[0:1], v[2:3]
	s_or_b64 s[6:7], vcc, s[6:7]
	v_mov_b64_e32 v[2:3], v[0:1]
	s_andn2_b64 exec, exec, s[6:7]
	s_cbranch_execnz .LBB0_112
.LBB0_113:
	s_or_b64 exec, exec, s[8:9]
	s_or_b64 exec, exec, s[2:3]
	s_waitcnt vmcnt(0) lgkmcnt(0)
	s_setpc_b64 s[30:31]
.Lfunc_end0:
	.size	__ockl_fprintf_append_string_n, .Lfunc_end0-__ockl_fprintf_append_string_n
                                        ; -- End function
	.set .L__ockl_fprintf_append_string_n.num_vgpr, 38
	.set .L__ockl_fprintf_append_string_n.num_agpr, 0
	.set .L__ockl_fprintf_append_string_n.numbered_sgpr, 32
	.set .L__ockl_fprintf_append_string_n.num_named_barrier, 0
	.set .L__ockl_fprintf_append_string_n.private_seg_size, 0
	.set .L__ockl_fprintf_append_string_n.uses_vcc, 1
	.set .L__ockl_fprintf_append_string_n.uses_flat_scratch, 0
	.set .L__ockl_fprintf_append_string_n.has_dyn_sized_stack, 0
	.set .L__ockl_fprintf_append_string_n.has_recursion, 0
	.set .L__ockl_fprintf_append_string_n.has_indirect_call, 0
	.section	.AMDGPU.csdata,"",@progbits
; Function info:
; codeLenInByte = 3764
; TotalNumSgprs: 38
; NumVgprs: 38
; NumAgprs: 0
; TotalNumVgprs: 38
; ScratchSize: 0
; MemoryBound: 0
	.text
	.p2align	2                               ; -- Begin function __assert_fail
	.type	__assert_fail,@function
__assert_fail:                          ; @__assert_fail
; %bb.0:
	s_waitcnt vmcnt(0) expcnt(0) lgkmcnt(0)
	s_mov_b32 s20, s33
	s_mov_b32 s33, s32
	s_or_saveexec_b64 s[0:1], -1
	scratch_store_dword off, v40, s33 offset:48 ; 4-byte Folded Spill
	s_mov_b64 exec, s[0:1]
	v_writelane_b32 v40, s30, 0
	s_add_i32 s32, s32, 64
	s_nop 0
	v_writelane_b32 v40, s31, 1
	v_mov_b32_e32 v36, v5
	v_mov_b32_e32 v5, 0
	s_getpc_b64 s[0:1]
	s_add_u32 s0, s0, __const.__assert_fail.fmt@rel32@lo+35
	s_addc_u32 s1, s1, __const.__assert_fail.fmt@rel32@hi+43
	global_load_dwordx4 v[8:11], v5, s[0:1]
	s_getpc_b64 s[0:1]
	s_add_u32 s0, s0, __const.__assert_fail.fmt@rel32@lo+4
	s_addc_u32 s1, s1, __const.__assert_fail.fmt@rel32@hi+12
	s_getpc_b64 s[10:11]
	s_add_u32 s10, s10, __const.__assert_fail.fmt@rel32@lo+20
	s_addc_u32 s11, s11, __const.__assert_fail.fmt@rel32@hi+28
	s_load_dwordx4 s[4:7], s[0:1], 0x0
	s_load_dwordx4 s[12:15], s[10:11], 0x0
	s_load_dwordx2 s[2:3], s[8:9], 0x50
	v_mov_b32_e32 v37, v6
	v_mov_b32_e32 v6, v0
	v_mbcnt_lo_u32_b32 v0, -1, 0
	v_mbcnt_hi_u32_b32 v52, -1, v0
	s_waitcnt lgkmcnt(0)
	v_mov_b64_e32 v[14:15], s[6:7]
	v_readfirstlane_b32 s0, v52
	v_mov_b32_e32 v7, v1
	v_mov_b64_e32 v[12:13], s[4:5]
	v_cmp_eq_u32_e64 s[0:1], s0, v52
	v_mov_b64_e32 v[18:19], s[14:15]
	v_mov_b64_e32 v[0:1], 0
	;; [unrolled: 1-line block ×3, first 2 shown]
	scratch_store_dwordx4 off, v[12:15], s33
	scratch_store_dwordx4 off, v[16:19], s33 offset:16
	s_waitcnt vmcnt(2)
	scratch_store_dwordx4 off, v[8:11], s33 offset:31
	s_and_saveexec_b64 s[4:5], s[0:1]
	s_cbranch_execz .LBB1_6
; %bb.1:
	global_load_dwordx2 v[10:11], v5, s[2:3] offset:24 sc0 sc1
	s_waitcnt vmcnt(0)
	buffer_inv sc0 sc1
	global_load_dwordx2 v[0:1], v5, s[2:3] offset:40
	global_load_dwordx2 v[8:9], v5, s[2:3]
	s_waitcnt vmcnt(1)
	v_and_b32_e32 v0, v0, v10
	v_and_b32_e32 v1, v1, v11
	v_mul_lo_u32 v1, v1, 24
	v_mul_hi_u32 v12, v0, 24
	v_add_u32_e32 v1, v12, v1
	v_mul_lo_u32 v0, v0, 24
	s_waitcnt vmcnt(0)
	v_lshl_add_u64 v[0:1], v[8:9], 0, v[0:1]
	global_load_dwordx2 v[8:9], v[0:1], off sc0 sc1
	s_waitcnt vmcnt(0)
	global_atomic_cmpswap_x2 v[0:1], v5, v[8:11], s[2:3] offset:24 sc0 sc1
	s_waitcnt vmcnt(0)
	buffer_inv sc0 sc1
	v_cmp_ne_u64_e32 vcc, v[0:1], v[10:11]
	s_and_saveexec_b64 s[6:7], vcc
	s_cbranch_execz .LBB1_5
; %bb.2:
	s_mov_b64 s[10:11], 0
	v_mov_b32_e32 v8, 0
.LBB1_3:                                ; =>This Inner Loop Header: Depth=1
	s_sleep 1
	global_load_dwordx2 v[10:11], v8, s[2:3] offset:40
	global_load_dwordx2 v[14:15], v8, s[2:3]
	v_mov_b64_e32 v[12:13], v[0:1]
	s_waitcnt vmcnt(1)
	v_and_b32_e32 v0, v10, v12
	s_waitcnt vmcnt(0)
	v_mad_u64_u32 v[0:1], s[12:13], v0, 24, v[14:15]
	v_and_b32_e32 v9, v11, v13
	v_mov_b32_e32 v10, v1
	v_mad_u64_u32 v[10:11], s[12:13], v9, 24, v[10:11]
	v_mov_b32_e32 v1, v10
	global_load_dwordx2 v[10:11], v[0:1], off sc0 sc1
	s_waitcnt vmcnt(0)
	global_atomic_cmpswap_x2 v[0:1], v8, v[10:13], s[2:3] offset:24 sc0 sc1
	s_waitcnt vmcnt(0)
	buffer_inv sc0 sc1
	v_cmp_eq_u64_e32 vcc, v[0:1], v[12:13]
	s_or_b64 s[10:11], vcc, s[10:11]
	s_andn2_b64 exec, exec, s[10:11]
	s_cbranch_execnz .LBB1_3
; %bb.4:
	s_or_b64 exec, exec, s[10:11]
.LBB1_5:
	s_or_b64 exec, exec, s[6:7]
.LBB1_6:
	s_or_b64 exec, exec, s[4:5]
	global_load_dwordx2 v[12:13], v5, s[2:3] offset:40
	global_load_dwordx4 v[8:11], v5, s[2:3]
	v_readfirstlane_b32 s5, v1
	v_readfirstlane_b32 s4, v0
	s_mov_b64 s[6:7], exec
	s_waitcnt vmcnt(1)
	v_readfirstlane_b32 s10, v12
	v_readfirstlane_b32 s11, v13
	s_and_b64 s[10:11], s[10:11], s[4:5]
	s_mul_i32 s12, s11, 24
	s_mul_hi_u32 s13, s10, 24
	s_add_i32 s13, s13, s12
	s_mul_i32 s12, s10, 24
	s_waitcnt vmcnt(0)
	v_lshl_add_u64 v[0:1], v[8:9], 0, s[12:13]
	s_and_saveexec_b64 s[12:13], s[0:1]
	s_cbranch_execz .LBB1_8
; %bb.7:
	v_mov_b64_e32 v[12:13], s[6:7]
	v_mov_b32_e32 v14, 2
	v_mov_b32_e32 v15, 1
	global_store_dwordx4 v[0:1], v[12:15], off offset:8
.LBB1_8:
	s_or_b64 exec, exec, s[12:13]
	s_lshl_b64 s[6:7], s[10:11], 12
	v_lshl_add_u64 v[12:13], v[10:11], 0, s[6:7]
	v_mov_b32_e32 v35, 0
	s_mov_b32 s12, 0
	v_lshlrev_b32_e32 v34, 6, v52
	v_mov_b32_e32 v14, 33
	v_mov_b32_e32 v16, 1
	;; [unrolled: 1-line block ×4, first 2 shown]
	v_readfirstlane_b32 s6, v12
	v_readfirstlane_b32 s7, v13
	s_mov_b32 s14, s12
	s_mov_b32 s15, s12
	;; [unrolled: 1-line block ×3, first 2 shown]
	s_nop 1
	global_store_dwordx4 v34, v[14:17], s[6:7]
	s_nop 1
	v_mov_b64_e32 v[16:17], s[14:15]
	v_mov_b64_e32 v[14:15], s[12:13]
	global_store_dwordx4 v34, v[14:17], s[6:7] offset:16
	global_store_dwordx4 v34, v[14:17], s[6:7] offset:32
	;; [unrolled: 1-line block ×3, first 2 shown]
	s_and_saveexec_b64 s[6:7], s[0:1]
	s_cbranch_execz .LBB1_16
; %bb.9:
	global_load_dwordx2 v[18:19], v35, s[2:3] offset:32 sc0 sc1
	global_load_dwordx2 v[10:11], v35, s[2:3] offset:40
	v_mov_b32_e32 v16, s4
	v_mov_b32_e32 v17, s5
	s_waitcnt vmcnt(0)
	v_and_b32_e32 v5, s4, v10
	v_and_b32_e32 v10, s5, v11
	v_mul_lo_u32 v11, v10, 24
	v_mul_hi_u32 v14, v5, 24
	v_mul_lo_u32 v10, v5, 24
	v_add_u32_e32 v11, v14, v11
	v_lshl_add_u64 v[14:15], v[8:9], 0, v[10:11]
	global_store_dwordx2 v[14:15], v[18:19], off
	buffer_wbl2 sc0 sc1
	s_waitcnt vmcnt(0)
	global_atomic_cmpswap_x2 v[10:11], v35, v[16:19], s[2:3] offset:32 sc0 sc1
	s_waitcnt vmcnt(0)
	v_cmp_ne_u64_e32 vcc, v[10:11], v[18:19]
	s_and_saveexec_b64 s[10:11], vcc
	s_cbranch_execz .LBB1_12
; %bb.10:
	s_mov_b64 s[12:13], 0
	v_mov_b32_e32 v5, 0
.LBB1_11:                               ; =>This Inner Loop Header: Depth=1
	s_sleep 1
	global_store_dwordx2 v[14:15], v[10:11], off
	v_mov_b32_e32 v8, s4
	v_mov_b32_e32 v9, s5
	buffer_wbl2 sc0 sc1
	s_waitcnt vmcnt(0)
	global_atomic_cmpswap_x2 v[8:9], v5, v[8:11], s[2:3] offset:32 sc0 sc1
	s_waitcnt vmcnt(0)
	v_cmp_eq_u64_e32 vcc, v[8:9], v[10:11]
	s_or_b64 s[12:13], vcc, s[12:13]
	v_mov_b64_e32 v[10:11], v[8:9]
	s_andn2_b64 exec, exec, s[12:13]
	s_cbranch_execnz .LBB1_11
.LBB1_12:
	s_or_b64 exec, exec, s[10:11]
	v_mov_b32_e32 v11, 0
	global_load_dwordx2 v[8:9], v11, s[2:3] offset:16
	s_mov_b64 s[10:11], exec
	v_mbcnt_lo_u32_b32 v5, s10, 0
	v_mbcnt_hi_u32_b32 v5, s11, v5
	v_cmp_eq_u32_e32 vcc, 0, v5
	s_and_saveexec_b64 s[12:13], vcc
	s_cbranch_execz .LBB1_14
; %bb.13:
	s_bcnt1_i32_b64 s10, s[10:11]
	v_mov_b32_e32 v10, s10
	buffer_wbl2 sc0 sc1
	s_waitcnt vmcnt(0)
	global_atomic_add_x2 v[8:9], v[10:11], off offset:8 sc1
.LBB1_14:
	s_or_b64 exec, exec, s[12:13]
	s_waitcnt vmcnt(0)
	global_load_dwordx2 v[10:11], v[8:9], off offset:16
	s_waitcnt vmcnt(0)
	v_cmp_eq_u64_e32 vcc, 0, v[10:11]
	s_cbranch_vccnz .LBB1_16
; %bb.15:
	global_load_dword v8, v[8:9], off offset:24
	v_mov_b32_e32 v9, 0
	s_waitcnt vmcnt(0)
	v_readfirstlane_b32 s10, v8
	s_and_b32 m0, s10, 0xffffff
	buffer_wbl2 sc0 sc1
	global_store_dwordx2 v[10:11], v[8:9], off sc0 sc1
	s_sendmsg sendmsg(MSG_INTERRUPT)
.LBB1_16:
	s_or_b64 exec, exec, s[6:7]
	v_lshl_add_u64 v[8:9], v[12:13], 0, v[34:35]
	s_branch .LBB1_20
.LBB1_17:                               ;   in Loop: Header=BB1_20 Depth=1
	s_or_b64 exec, exec, s[6:7]
	v_readfirstlane_b32 s6, v5
	s_cmp_eq_u32 s6, 0
	s_cbranch_scc1 .LBB1_19
; %bb.18:                               ;   in Loop: Header=BB1_20 Depth=1
	s_sleep 1
	s_cbranch_execnz .LBB1_20
	s_branch .LBB1_22
.LBB1_19:
	s_branch .LBB1_22
.LBB1_20:                               ; =>This Inner Loop Header: Depth=1
	v_mov_b32_e32 v5, 1
	s_and_saveexec_b64 s[6:7], s[0:1]
	s_cbranch_execz .LBB1_17
; %bb.21:                               ;   in Loop: Header=BB1_20 Depth=1
	global_load_dword v5, v[0:1], off offset:20 sc0 sc1
	s_waitcnt vmcnt(0)
	buffer_inv sc0 sc1
	v_and_b32_e32 v5, 1, v5
	s_branch .LBB1_17
.LBB1_22:
	global_load_dwordx2 v[12:13], v[8:9], off
	s_and_saveexec_b64 s[6:7], s[0:1]
	s_cbranch_execz .LBB1_25
; %bb.23:
	v_mov_b32_e32 v5, 0
	global_load_dwordx2 v[0:1], v5, s[2:3] offset:40
	global_load_dwordx2 v[16:17], v5, s[2:3] offset:24 sc0 sc1
	global_load_dwordx2 v[8:9], v5, s[2:3]
	s_waitcnt vmcnt(2)
	v_readfirstlane_b32 s10, v0
	v_readfirstlane_b32 s11, v1
	s_add_u32 s12, s10, 1
	s_addc_u32 s13, s11, 0
	s_add_u32 s0, s12, s4
	s_addc_u32 s1, s13, s5
	s_cmp_eq_u64 s[0:1], 0
	s_cselect_b32 s1, s13, s1
	s_cselect_b32 s0, s12, s0
	s_and_b64 s[4:5], s[0:1], s[10:11]
	s_mul_i32 s5, s5, 24
	s_mul_hi_u32 s10, s4, 24
	s_mul_i32 s4, s4, 24
	s_add_i32 s5, s10, s5
	s_waitcnt vmcnt(0)
	v_lshl_add_u64 v[0:1], v[8:9], 0, s[4:5]
	v_mov_b32_e32 v14, s0
	global_store_dwordx2 v[0:1], v[16:17], off
	v_mov_b32_e32 v15, s1
	buffer_wbl2 sc0 sc1
	s_waitcnt vmcnt(0)
	global_atomic_cmpswap_x2 v[10:11], v5, v[14:17], s[2:3] offset:24 sc0 sc1
	s_mov_b64 s[4:5], 0
	s_waitcnt vmcnt(0)
	v_cmp_ne_u64_e32 vcc, v[10:11], v[16:17]
	s_and_b64 exec, exec, vcc
	s_cbranch_execz .LBB1_25
.LBB1_24:                               ; =>This Inner Loop Header: Depth=1
	s_sleep 1
	global_store_dwordx2 v[0:1], v[10:11], off
	v_mov_b32_e32 v8, s0
	v_mov_b32_e32 v9, s1
	buffer_wbl2 sc0 sc1
	s_waitcnt vmcnt(0)
	global_atomic_cmpswap_x2 v[8:9], v5, v[8:11], s[2:3] offset:24 sc0 sc1
	s_waitcnt vmcnt(0)
	v_cmp_eq_u64_e32 vcc, v[8:9], v[10:11]
	s_or_b64 s[4:5], vcc, s[4:5]
	v_mov_b64_e32 v[10:11], v[8:9]
	s_andn2_b64 exec, exec, s[4:5]
	s_cbranch_execnz .LBB1_24
.LBB1_25:
	s_or_b64 exec, exec, s[6:7]
	s_mov_b32 s4, s33
	s_mov_b64 s[0:1], 0
.LBB1_26:                               ; =>This Inner Loop Header: Depth=1
	scratch_load_ubyte v1, off, s4
	s_add_i32 s4, s4, 1
	v_mov_b32_e32 v0, s4
	s_waitcnt vmcnt(0)
	v_cmp_eq_u16_e32 vcc, 0, v1
	s_or_b64 s[0:1], vcc, s[0:1]
	s_andn2_b64 exec, exec, s[0:1]
	s_cbranch_execnz .LBB1_26
; %bb.27:
	s_or_b64 exec, exec, s[0:1]
	s_cmp_lg_u32 s33, -1
	s_cbranch_scc0 .LBB1_112
; %bb.28:
	v_subrev_u32_e32 v0, s33, v0
	v_ashrrev_i32_e32 v1, 31, v0
	v_and_b32_e32 v38, 2, v12
	v_mov_b32_e32 v35, 0
	v_and_b32_e32 v8, -3, v12
	v_mov_b32_e32 v9, v13
	s_mov_b64 s[4:5], 0
	v_mov_b32_e32 v5, s33
	s_mov_b32 s16, 0
	s_movk_i32 s17, 0x1e0
	v_mov_b32_e32 v16, 2
	v_mov_b32_e32 v17, 1
	s_branch .LBB1_30
.LBB1_29:                               ;   in Loop: Header=BB1_30 Depth=1
	s_or_b64 exec, exec, s[10:11]
	v_sub_co_u32_e32 v0, vcc, v0, v48
	v_add_u32_e32 v5, v5, v48
	s_nop 0
	v_subb_co_u32_e32 v1, vcc, v1, v49, vcc
	v_cmp_eq_u64_e32 vcc, 0, v[0:1]
	s_or_b64 s[4:5], vcc, s[4:5]
	s_andn2_b64 exec, exec, s[4:5]
	s_cbranch_execz .LBB1_113
.LBB1_30:                               ; =>This Loop Header: Depth=1
                                        ;     Child Loop BB1_33 Depth 2
                                        ;     Child Loop BB1_41 Depth 2
	;; [unrolled: 1-line block ×11, first 2 shown]
	v_cmp_gt_u64_e32 vcc, 56, v[0:1]
	v_add_u32_e32 v15, 8, v5
	s_nop 0
	v_cndmask_b32_e32 v49, 0, v1, vcc
	v_cndmask_b32_e32 v48, 56, v0, vcc
	v_cmp_gt_u64_e32 vcc, 8, v[0:1]
	s_and_saveexec_b64 s[0:1], vcc
	s_xor_b64 s[0:1], exec, s[0:1]
	s_cbranch_execz .LBB1_36
; %bb.31:                               ;   in Loop: Header=BB1_30 Depth=1
	v_mov_b64_e32 v[10:11], 0
	v_cmp_ne_u64_e32 vcc, 0, v[0:1]
	s_and_saveexec_b64 s[6:7], vcc
	s_cbranch_execz .LBB1_35
; %bb.32:                               ;   in Loop: Header=BB1_30 Depth=1
	v_lshlrev_b64 v[14:15], 3, v[48:49]
	s_mov_b64 s[10:11], 0
	v_mov_b64_e32 v[10:11], 0
	s_mov_b64 s[12:13], 0
	v_mov_b32_e32 v15, v5
.LBB1_33:                               ;   Parent Loop BB1_30 Depth=1
                                        ; =>  This Inner Loop Header: Depth=2
	scratch_load_ubyte v18, v15, off
	v_mov_b32_e32 v19, s16
	v_add_u32_e32 v15, 1, v15
	s_waitcnt vmcnt(0)
	v_and_b32_e32 v18, 0xffff, v18
	v_lshlrev_b64 v[18:19], s12, v[18:19]
	s_add_u32 s12, s12, 8
	s_addc_u32 s13, s13, 0
	v_cmp_eq_u32_e32 vcc, s12, v14
	v_or_b32_e32 v11, v19, v11
	s_or_b64 s[10:11], vcc, s[10:11]
	v_or_b32_e32 v10, v18, v10
	s_andn2_b64 exec, exec, s[10:11]
	s_cbranch_execnz .LBB1_33
; %bb.34:                               ;   in Loop: Header=BB1_30 Depth=1
	s_or_b64 exec, exec, s[10:11]
.LBB1_35:                               ;   in Loop: Header=BB1_30 Depth=1
	s_or_b64 exec, exec, s[6:7]
	v_mov_b32_e32 v15, v5
.LBB1_36:                               ;   in Loop: Header=BB1_30 Depth=1
	s_or_saveexec_b64 s[0:1], s[0:1]
	v_mov_b32_e32 v20, 0
	s_xor_b64 exec, exec, s[0:1]
	s_cbranch_execz .LBB1_38
; %bb.37:                               ;   in Loop: Header=BB1_30 Depth=1
	scratch_load_dwordx2 v[10:11], v5, off
	v_add_u32_e32 v20, -8, v48
.LBB1_38:                               ;   in Loop: Header=BB1_30 Depth=1
	s_or_b64 exec, exec, s[0:1]
	v_cmp_gt_u32_e32 vcc, 8, v20
	v_add_u32_e32 v14, 8, v15
                                        ; implicit-def: $vgpr18_vgpr19
	s_and_saveexec_b64 s[0:1], vcc
	s_xor_b64 s[0:1], exec, s[0:1]
	s_cbranch_execz .LBB1_44
; %bb.39:                               ;   in Loop: Header=BB1_30 Depth=1
	v_cmp_ne_u32_e32 vcc, 0, v20
	v_mov_b64_e32 v[18:19], 0
	s_and_saveexec_b64 s[6:7], vcc
	s_cbranch_execz .LBB1_43
; %bb.40:                               ;   in Loop: Header=BB1_30 Depth=1
	s_mov_b32 s14, 0
	s_mov_b64 s[10:11], 0
	v_mov_b64_e32 v[18:19], 0
	s_mov_b64 s[12:13], 0
.LBB1_41:                               ;   Parent Loop BB1_30 Depth=1
                                        ; =>  This Inner Loop Header: Depth=2
	v_add_u32_e32 v14, s14, v15
	scratch_load_ubyte v14, v14, off
	v_mov_b32_e32 v23, s16
	s_add_i32 s14, s14, 1
	v_cmp_eq_u32_e32 vcc, s14, v20
	s_waitcnt vmcnt(0)
	v_and_b32_e32 v22, 0xffff, v14
	v_lshlrev_b64 v[22:23], s12, v[22:23]
	s_add_u32 s12, s12, 8
	s_addc_u32 s13, s13, 0
	v_or_b32_e32 v19, v23, v19
	s_or_b64 s[10:11], vcc, s[10:11]
	v_or_b32_e32 v18, v22, v18
	s_andn2_b64 exec, exec, s[10:11]
	s_cbranch_execnz .LBB1_41
; %bb.42:                               ;   in Loop: Header=BB1_30 Depth=1
	s_or_b64 exec, exec, s[10:11]
.LBB1_43:                               ;   in Loop: Header=BB1_30 Depth=1
	s_or_b64 exec, exec, s[6:7]
	v_mov_b32_e32 v14, v15
                                        ; implicit-def: $vgpr20
.LBB1_44:                               ;   in Loop: Header=BB1_30 Depth=1
	s_or_saveexec_b64 s[0:1], s[0:1]
	v_mov_b32_e32 v22, 0
	s_xor_b64 exec, exec, s[0:1]
	s_cbranch_execz .LBB1_46
; %bb.45:                               ;   in Loop: Header=BB1_30 Depth=1
	scratch_load_dwordx2 v[18:19], v15, off
	v_add_u32_e32 v22, -8, v20
.LBB1_46:                               ;   in Loop: Header=BB1_30 Depth=1
	s_or_b64 exec, exec, s[0:1]
	v_cmp_gt_u32_e32 vcc, 8, v22
	v_add_u32_e32 v15, 8, v14
	s_and_saveexec_b64 s[0:1], vcc
	s_xor_b64 s[0:1], exec, s[0:1]
	s_cbranch_execz .LBB1_52
; %bb.47:                               ;   in Loop: Header=BB1_30 Depth=1
	v_cmp_ne_u32_e32 vcc, 0, v22
	v_mov_b64_e32 v[20:21], 0
	s_and_saveexec_b64 s[6:7], vcc
	s_cbranch_execz .LBB1_51
; %bb.48:                               ;   in Loop: Header=BB1_30 Depth=1
	s_mov_b32 s14, 0
	s_mov_b64 s[10:11], 0
	v_mov_b64_e32 v[20:21], 0
	s_mov_b64 s[12:13], 0
.LBB1_49:                               ;   Parent Loop BB1_30 Depth=1
                                        ; =>  This Inner Loop Header: Depth=2
	v_add_u32_e32 v15, s14, v14
	scratch_load_ubyte v15, v15, off
	v_mov_b32_e32 v25, s16
	s_add_i32 s14, s14, 1
	v_cmp_eq_u32_e32 vcc, s14, v22
	s_waitcnt vmcnt(0)
	v_and_b32_e32 v24, 0xffff, v15
	v_lshlrev_b64 v[24:25], s12, v[24:25]
	s_add_u32 s12, s12, 8
	s_addc_u32 s13, s13, 0
	v_or_b32_e32 v21, v25, v21
	s_or_b64 s[10:11], vcc, s[10:11]
	v_or_b32_e32 v20, v24, v20
	s_andn2_b64 exec, exec, s[10:11]
	s_cbranch_execnz .LBB1_49
; %bb.50:                               ;   in Loop: Header=BB1_30 Depth=1
	s_or_b64 exec, exec, s[10:11]
.LBB1_51:                               ;   in Loop: Header=BB1_30 Depth=1
	s_or_b64 exec, exec, s[6:7]
	v_mov_b32_e32 v15, v14
                                        ; implicit-def: $vgpr22
.LBB1_52:                               ;   in Loop: Header=BB1_30 Depth=1
	s_or_saveexec_b64 s[0:1], s[0:1]
	v_mov_b32_e32 v24, 0
	s_xor_b64 exec, exec, s[0:1]
	s_cbranch_execz .LBB1_54
; %bb.53:                               ;   in Loop: Header=BB1_30 Depth=1
	scratch_load_dwordx2 v[20:21], v14, off
	v_add_u32_e32 v24, -8, v22
.LBB1_54:                               ;   in Loop: Header=BB1_30 Depth=1
	s_or_b64 exec, exec, s[0:1]
	v_cmp_gt_u32_e32 vcc, 8, v24
	v_add_u32_e32 v14, 8, v15
                                        ; implicit-def: $vgpr22_vgpr23
	s_and_saveexec_b64 s[0:1], vcc
	s_xor_b64 s[0:1], exec, s[0:1]
	s_cbranch_execz .LBB1_60
; %bb.55:                               ;   in Loop: Header=BB1_30 Depth=1
	v_cmp_ne_u32_e32 vcc, 0, v24
	v_mov_b64_e32 v[22:23], 0
	s_and_saveexec_b64 s[6:7], vcc
	s_cbranch_execz .LBB1_59
; %bb.56:                               ;   in Loop: Header=BB1_30 Depth=1
	s_mov_b32 s14, 0
	s_mov_b64 s[10:11], 0
	v_mov_b64_e32 v[22:23], 0
	s_mov_b64 s[12:13], 0
.LBB1_57:                               ;   Parent Loop BB1_30 Depth=1
                                        ; =>  This Inner Loop Header: Depth=2
	v_add_u32_e32 v14, s14, v15
	scratch_load_ubyte v14, v14, off
	v_mov_b32_e32 v27, s16
	s_add_i32 s14, s14, 1
	v_cmp_eq_u32_e32 vcc, s14, v24
	s_waitcnt vmcnt(0)
	v_and_b32_e32 v26, 0xffff, v14
	v_lshlrev_b64 v[26:27], s12, v[26:27]
	s_add_u32 s12, s12, 8
	s_addc_u32 s13, s13, 0
	v_or_b32_e32 v23, v27, v23
	s_or_b64 s[10:11], vcc, s[10:11]
	v_or_b32_e32 v22, v26, v22
	s_andn2_b64 exec, exec, s[10:11]
	s_cbranch_execnz .LBB1_57
; %bb.58:                               ;   in Loop: Header=BB1_30 Depth=1
	s_or_b64 exec, exec, s[10:11]
.LBB1_59:                               ;   in Loop: Header=BB1_30 Depth=1
	s_or_b64 exec, exec, s[6:7]
	v_mov_b32_e32 v14, v15
                                        ; implicit-def: $vgpr24
.LBB1_60:                               ;   in Loop: Header=BB1_30 Depth=1
	s_or_saveexec_b64 s[0:1], s[0:1]
	v_mov_b32_e32 v26, 0
	s_xor_b64 exec, exec, s[0:1]
	s_cbranch_execz .LBB1_62
; %bb.61:                               ;   in Loop: Header=BB1_30 Depth=1
	scratch_load_dwordx2 v[22:23], v15, off
	v_add_u32_e32 v26, -8, v24
.LBB1_62:                               ;   in Loop: Header=BB1_30 Depth=1
	s_or_b64 exec, exec, s[0:1]
	v_cmp_gt_u32_e32 vcc, 8, v26
	v_add_u32_e32 v15, 8, v14
	s_and_saveexec_b64 s[0:1], vcc
	s_xor_b64 s[0:1], exec, s[0:1]
	s_cbranch_execz .LBB1_68
; %bb.63:                               ;   in Loop: Header=BB1_30 Depth=1
	v_cmp_ne_u32_e32 vcc, 0, v26
	v_mov_b64_e32 v[24:25], 0
	s_and_saveexec_b64 s[6:7], vcc
	s_cbranch_execz .LBB1_67
; %bb.64:                               ;   in Loop: Header=BB1_30 Depth=1
	s_mov_b32 s14, 0
	s_mov_b64 s[10:11], 0
	v_mov_b64_e32 v[24:25], 0
	s_mov_b64 s[12:13], 0
.LBB1_65:                               ;   Parent Loop BB1_30 Depth=1
                                        ; =>  This Inner Loop Header: Depth=2
	v_add_u32_e32 v15, s14, v14
	scratch_load_ubyte v15, v15, off
	v_mov_b32_e32 v29, s16
	s_add_i32 s14, s14, 1
	v_cmp_eq_u32_e32 vcc, s14, v26
	s_waitcnt vmcnt(0)
	v_and_b32_e32 v28, 0xffff, v15
	v_lshlrev_b64 v[28:29], s12, v[28:29]
	s_add_u32 s12, s12, 8
	s_addc_u32 s13, s13, 0
	v_or_b32_e32 v25, v29, v25
	s_or_b64 s[10:11], vcc, s[10:11]
	v_or_b32_e32 v24, v28, v24
	s_andn2_b64 exec, exec, s[10:11]
	s_cbranch_execnz .LBB1_65
; %bb.66:                               ;   in Loop: Header=BB1_30 Depth=1
	s_or_b64 exec, exec, s[10:11]
.LBB1_67:                               ;   in Loop: Header=BB1_30 Depth=1
	s_or_b64 exec, exec, s[6:7]
	v_mov_b32_e32 v15, v14
                                        ; implicit-def: $vgpr26
.LBB1_68:                               ;   in Loop: Header=BB1_30 Depth=1
	s_or_saveexec_b64 s[0:1], s[0:1]
	v_mov_b32_e32 v28, 0
	s_xor_b64 exec, exec, s[0:1]
	s_cbranch_execz .LBB1_70
; %bb.69:                               ;   in Loop: Header=BB1_30 Depth=1
	scratch_load_dwordx2 v[24:25], v14, off
	v_add_u32_e32 v28, -8, v26
.LBB1_70:                               ;   in Loop: Header=BB1_30 Depth=1
	s_or_b64 exec, exec, s[0:1]
	v_cmp_gt_u32_e32 vcc, 8, v28
	v_add_u32_e32 v14, 8, v15
                                        ; implicit-def: $vgpr26_vgpr27
	s_and_saveexec_b64 s[0:1], vcc
	s_xor_b64 s[0:1], exec, s[0:1]
	s_cbranch_execz .LBB1_76
; %bb.71:                               ;   in Loop: Header=BB1_30 Depth=1
	v_cmp_ne_u32_e32 vcc, 0, v28
	v_mov_b64_e32 v[26:27], 0
	s_and_saveexec_b64 s[6:7], vcc
	s_cbranch_execz .LBB1_75
; %bb.72:                               ;   in Loop: Header=BB1_30 Depth=1
	s_mov_b32 s14, 0
	s_mov_b64 s[10:11], 0
	v_mov_b64_e32 v[26:27], 0
	s_mov_b64 s[12:13], 0
.LBB1_73:                               ;   Parent Loop BB1_30 Depth=1
                                        ; =>  This Inner Loop Header: Depth=2
	v_add_u32_e32 v14, s14, v15
	scratch_load_ubyte v14, v14, off
	v_mov_b32_e32 v31, s16
	s_add_i32 s14, s14, 1
	v_cmp_eq_u32_e32 vcc, s14, v28
	s_waitcnt vmcnt(0)
	v_and_b32_e32 v30, 0xffff, v14
	v_lshlrev_b64 v[30:31], s12, v[30:31]
	s_add_u32 s12, s12, 8
	s_addc_u32 s13, s13, 0
	v_or_b32_e32 v27, v31, v27
	s_or_b64 s[10:11], vcc, s[10:11]
	v_or_b32_e32 v26, v30, v26
	s_andn2_b64 exec, exec, s[10:11]
	s_cbranch_execnz .LBB1_73
; %bb.74:                               ;   in Loop: Header=BB1_30 Depth=1
	s_or_b64 exec, exec, s[10:11]
.LBB1_75:                               ;   in Loop: Header=BB1_30 Depth=1
	s_or_b64 exec, exec, s[6:7]
	v_mov_b32_e32 v14, v15
                                        ; implicit-def: $vgpr28
.LBB1_76:                               ;   in Loop: Header=BB1_30 Depth=1
	s_or_saveexec_b64 s[0:1], s[0:1]
	v_mov_b32_e32 v30, 0
	s_xor_b64 exec, exec, s[0:1]
	s_cbranch_execz .LBB1_78
; %bb.77:                               ;   in Loop: Header=BB1_30 Depth=1
	scratch_load_dwordx2 v[26:27], v15, off
	v_add_u32_e32 v30, -8, v28
.LBB1_78:                               ;   in Loop: Header=BB1_30 Depth=1
	s_or_b64 exec, exec, s[0:1]
	v_cmp_gt_u32_e32 vcc, 8, v30
	s_and_saveexec_b64 s[0:1], vcc
	s_xor_b64 s[0:1], exec, s[0:1]
	s_cbranch_execz .LBB1_84
; %bb.79:                               ;   in Loop: Header=BB1_30 Depth=1
	v_cmp_ne_u32_e32 vcc, 0, v30
	v_mov_b64_e32 v[28:29], 0
	s_and_saveexec_b64 s[6:7], vcc
	s_cbranch_execz .LBB1_83
; %bb.80:                               ;   in Loop: Header=BB1_30 Depth=1
	s_mov_b64 s[10:11], 0
	v_mov_b64_e32 v[28:29], 0
	s_mov_b64 s[12:13], 0
.LBB1_81:                               ;   Parent Loop BB1_30 Depth=1
                                        ; =>  This Inner Loop Header: Depth=2
	scratch_load_ubyte v15, v14, off
	v_mov_b32_e32 v33, s16
	v_add_u32_e32 v30, -1, v30
	v_cmp_eq_u32_e32 vcc, 0, v30
	v_add_u32_e32 v14, 1, v14
	s_waitcnt vmcnt(0)
	v_and_b32_e32 v32, 0xffff, v15
	v_lshlrev_b64 v[32:33], s12, v[32:33]
	s_add_u32 s12, s12, 8
	s_addc_u32 s13, s13, 0
	v_or_b32_e32 v29, v33, v29
	s_or_b64 s[10:11], vcc, s[10:11]
	v_or_b32_e32 v28, v32, v28
	s_andn2_b64 exec, exec, s[10:11]
	s_cbranch_execnz .LBB1_81
; %bb.82:                               ;   in Loop: Header=BB1_30 Depth=1
	s_or_b64 exec, exec, s[10:11]
.LBB1_83:                               ;   in Loop: Header=BB1_30 Depth=1
	s_or_b64 exec, exec, s[6:7]
                                        ; implicit-def: $vgpr14
.LBB1_84:                               ;   in Loop: Header=BB1_30 Depth=1
	s_andn2_saveexec_b64 s[0:1], s[0:1]
	s_cbranch_execz .LBB1_86
; %bb.85:                               ;   in Loop: Header=BB1_30 Depth=1
	scratch_load_dwordx2 v[28:29], v14, off
.LBB1_86:                               ;   in Loop: Header=BB1_30 Depth=1
	s_or_b64 exec, exec, s[0:1]
	v_readfirstlane_b32 s0, v52
	v_mov_b64_e32 v[14:15], 0
	s_nop 0
	v_cmp_eq_u32_e64 s[0:1], s0, v52
	s_and_saveexec_b64 s[6:7], s[0:1]
	s_cbranch_execz .LBB1_92
; %bb.87:                               ;   in Loop: Header=BB1_30 Depth=1
	global_load_dwordx2 v[32:33], v35, s[2:3] offset:24 sc0 sc1
	s_waitcnt vmcnt(0)
	buffer_inv sc0 sc1
	global_load_dwordx2 v[14:15], v35, s[2:3] offset:40
	global_load_dwordx2 v[30:31], v35, s[2:3]
	s_waitcnt vmcnt(1)
	v_and_b32_e32 v14, v14, v32
	v_and_b32_e32 v15, v15, v33
	v_mul_lo_u32 v15, v15, 24
	v_mul_hi_u32 v39, v14, 24
	v_add_u32_e32 v15, v39, v15
	v_mul_lo_u32 v14, v14, 24
	s_waitcnt vmcnt(0)
	v_lshl_add_u64 v[14:15], v[30:31], 0, v[14:15]
	global_load_dwordx2 v[30:31], v[14:15], off sc0 sc1
	s_waitcnt vmcnt(0)
	global_atomic_cmpswap_x2 v[14:15], v35, v[30:33], s[2:3] offset:24 sc0 sc1
	s_waitcnt vmcnt(0)
	buffer_inv sc0 sc1
	v_cmp_ne_u64_e32 vcc, v[14:15], v[32:33]
	s_and_saveexec_b64 s[10:11], vcc
	s_cbranch_execz .LBB1_91
; %bb.88:                               ;   in Loop: Header=BB1_30 Depth=1
	s_mov_b64 s[12:13], 0
.LBB1_89:                               ;   Parent Loop BB1_30 Depth=1
                                        ; =>  This Inner Loop Header: Depth=2
	s_sleep 1
	global_load_dwordx2 v[30:31], v35, s[2:3] offset:40
	global_load_dwordx2 v[50:51], v35, s[2:3]
	v_mov_b64_e32 v[32:33], v[14:15]
	s_waitcnt vmcnt(1)
	v_and_b32_e32 v14, v30, v32
	s_waitcnt vmcnt(0)
	v_mad_u64_u32 v[14:15], s[14:15], v14, 24, v[50:51]
	v_and_b32_e32 v31, v31, v33
	v_mov_b32_e32 v30, v15
	v_mad_u64_u32 v[30:31], s[14:15], v31, 24, v[30:31]
	v_mov_b32_e32 v15, v30
	global_load_dwordx2 v[30:31], v[14:15], off sc0 sc1
	s_waitcnt vmcnt(0)
	global_atomic_cmpswap_x2 v[14:15], v35, v[30:33], s[2:3] offset:24 sc0 sc1
	s_waitcnt vmcnt(0)
	buffer_inv sc0 sc1
	v_cmp_eq_u64_e32 vcc, v[14:15], v[32:33]
	s_or_b64 s[12:13], vcc, s[12:13]
	s_andn2_b64 exec, exec, s[12:13]
	s_cbranch_execnz .LBB1_89
; %bb.90:                               ;   in Loop: Header=BB1_30 Depth=1
	s_or_b64 exec, exec, s[12:13]
.LBB1_91:                               ;   in Loop: Header=BB1_30 Depth=1
	s_or_b64 exec, exec, s[10:11]
.LBB1_92:                               ;   in Loop: Header=BB1_30 Depth=1
	s_or_b64 exec, exec, s[6:7]
	global_load_dwordx2 v[50:51], v35, s[2:3] offset:40
	global_load_dwordx4 v[30:33], v35, s[2:3]
	v_readfirstlane_b32 s7, v15
	v_readfirstlane_b32 s6, v14
	s_mov_b64 s[10:11], exec
	s_waitcnt vmcnt(1)
	v_readfirstlane_b32 s12, v50
	v_readfirstlane_b32 s13, v51
	s_and_b64 s[12:13], s[12:13], s[6:7]
	s_mul_i32 s14, s13, 24
	s_mul_hi_u32 s15, s12, 24
	s_add_i32 s15, s15, s14
	s_mul_i32 s14, s12, 24
	s_waitcnt vmcnt(0)
	v_lshl_add_u64 v[50:51], v[30:31], 0, s[14:15]
	s_and_saveexec_b64 s[14:15], s[0:1]
	s_cbranch_execz .LBB1_94
; %bb.93:                               ;   in Loop: Header=BB1_30 Depth=1
	v_mov_b64_e32 v[14:15], s[10:11]
	global_store_dwordx4 v[50:51], v[14:17], off offset:8
.LBB1_94:                               ;   in Loop: Header=BB1_30 Depth=1
	s_or_b64 exec, exec, s[14:15]
	s_lshl_b64 s[10:11], s[12:13], 12
	v_cmp_gt_u64_e32 vcc, 57, v[0:1]
	v_lshl_add_u64 v[14:15], v[32:33], 0, s[10:11]
	v_and_b32_e32 v8, 0xffffff1f, v8
	v_cndmask_b32_e32 v32, 0, v38, vcc
	v_lshl_add_u32 v33, v48, 2, 28
	v_or_b32_e32 v8, v8, v32
	v_and_or_b32 v8, v33, s17, v8
	v_readfirstlane_b32 s10, v14
	v_readfirstlane_b32 s11, v15
	s_nop 4
	global_store_dwordx4 v34, v[8:11], s[10:11]
	global_store_dwordx4 v34, v[18:21], s[10:11] offset:16
	global_store_dwordx4 v34, v[22:25], s[10:11] offset:32
	;; [unrolled: 1-line block ×3, first 2 shown]
	s_and_saveexec_b64 s[10:11], s[0:1]
	s_cbranch_execz .LBB1_102
; %bb.95:                               ;   in Loop: Header=BB1_30 Depth=1
	global_load_dwordx2 v[22:23], v35, s[2:3] offset:32 sc0 sc1
	global_load_dwordx2 v[8:9], v35, s[2:3] offset:40
	v_mov_b32_e32 v20, s6
	v_mov_b32_e32 v21, s7
	s_waitcnt vmcnt(0)
	v_readfirstlane_b32 s12, v8
	v_readfirstlane_b32 s13, v9
	s_and_b64 s[12:13], s[12:13], s[6:7]
	s_mul_i32 s13, s13, 24
	s_mul_hi_u32 s14, s12, 24
	s_mul_i32 s12, s12, 24
	s_add_i32 s13, s14, s13
	v_lshl_add_u64 v[18:19], v[30:31], 0, s[12:13]
	global_store_dwordx2 v[18:19], v[22:23], off
	buffer_wbl2 sc0 sc1
	s_waitcnt vmcnt(0)
	global_atomic_cmpswap_x2 v[10:11], v35, v[20:23], s[2:3] offset:32 sc0 sc1
	s_waitcnt vmcnt(0)
	v_cmp_ne_u64_e32 vcc, v[10:11], v[22:23]
	s_and_saveexec_b64 s[12:13], vcc
	s_cbranch_execz .LBB1_98
; %bb.96:                               ;   in Loop: Header=BB1_30 Depth=1
	s_mov_b64 s[14:15], 0
.LBB1_97:                               ;   Parent Loop BB1_30 Depth=1
                                        ; =>  This Inner Loop Header: Depth=2
	s_sleep 1
	global_store_dwordx2 v[18:19], v[10:11], off
	v_mov_b32_e32 v8, s6
	v_mov_b32_e32 v9, s7
	buffer_wbl2 sc0 sc1
	s_waitcnt vmcnt(0)
	global_atomic_cmpswap_x2 v[8:9], v35, v[8:11], s[2:3] offset:32 sc0 sc1
	s_waitcnt vmcnt(0)
	v_cmp_eq_u64_e32 vcc, v[8:9], v[10:11]
	s_or_b64 s[14:15], vcc, s[14:15]
	v_mov_b64_e32 v[10:11], v[8:9]
	s_andn2_b64 exec, exec, s[14:15]
	s_cbranch_execnz .LBB1_97
.LBB1_98:                               ;   in Loop: Header=BB1_30 Depth=1
	s_or_b64 exec, exec, s[12:13]
	global_load_dwordx2 v[8:9], v35, s[2:3] offset:16
	s_mov_b64 s[14:15], exec
	v_mbcnt_lo_u32_b32 v10, s14, 0
	v_mbcnt_hi_u32_b32 v10, s15, v10
	v_cmp_eq_u32_e32 vcc, 0, v10
	s_and_saveexec_b64 s[12:13], vcc
	s_cbranch_execz .LBB1_100
; %bb.99:                               ;   in Loop: Header=BB1_30 Depth=1
	s_bcnt1_i32_b64 s14, s[14:15]
	v_mov_b32_e32 v10, s14
	v_mov_b32_e32 v11, v35
	buffer_wbl2 sc0 sc1
	s_waitcnt vmcnt(0)
	global_atomic_add_x2 v[8:9], v[10:11], off offset:8 sc1
.LBB1_100:                              ;   in Loop: Header=BB1_30 Depth=1
	s_or_b64 exec, exec, s[12:13]
	s_waitcnt vmcnt(0)
	global_load_dwordx2 v[10:11], v[8:9], off offset:16
	s_waitcnt vmcnt(0)
	v_cmp_eq_u64_e32 vcc, 0, v[10:11]
	s_cbranch_vccnz .LBB1_102
; %bb.101:                              ;   in Loop: Header=BB1_30 Depth=1
	global_load_dword v8, v[8:9], off offset:24
	v_mov_b32_e32 v9, v35
	s_waitcnt vmcnt(0)
	v_readfirstlane_b32 s12, v8
	s_and_b32 m0, s12, 0xffffff
	buffer_wbl2 sc0 sc1
	global_store_dwordx2 v[10:11], v[8:9], off sc0 sc1
	s_sendmsg sendmsg(MSG_INTERRUPT)
.LBB1_102:                              ;   in Loop: Header=BB1_30 Depth=1
	s_or_b64 exec, exec, s[10:11]
	v_lshl_add_u64 v[8:9], v[14:15], 0, v[34:35]
	s_branch .LBB1_106
.LBB1_103:                              ;   in Loop: Header=BB1_106 Depth=2
	s_or_b64 exec, exec, s[10:11]
	v_readfirstlane_b32 s10, v10
	s_cmp_eq_u32 s10, 0
	s_cbranch_scc1 .LBB1_105
; %bb.104:                              ;   in Loop: Header=BB1_106 Depth=2
	s_sleep 1
	s_cbranch_execnz .LBB1_106
	s_branch .LBB1_108
.LBB1_105:                              ;   in Loop: Header=BB1_30 Depth=1
	s_branch .LBB1_108
.LBB1_106:                              ;   Parent Loop BB1_30 Depth=1
                                        ; =>  This Inner Loop Header: Depth=2
	v_mov_b32_e32 v10, 1
	s_and_saveexec_b64 s[10:11], s[0:1]
	s_cbranch_execz .LBB1_103
; %bb.107:                              ;   in Loop: Header=BB1_106 Depth=2
	global_load_dword v10, v[50:51], off offset:20 sc0 sc1
	s_waitcnt vmcnt(0)
	buffer_inv sc0 sc1
	v_and_b32_e32 v10, 1, v10
	s_branch .LBB1_103
.LBB1_108:                              ;   in Loop: Header=BB1_30 Depth=1
	global_load_dwordx2 v[8:9], v[8:9], off
	s_and_saveexec_b64 s[10:11], s[0:1]
	s_cbranch_execz .LBB1_29
; %bb.109:                              ;   in Loop: Header=BB1_30 Depth=1
	global_load_dwordx2 v[10:11], v35, s[2:3] offset:40
	global_load_dwordx2 v[22:23], v35, s[2:3] offset:24 sc0 sc1
	global_load_dwordx2 v[14:15], v35, s[2:3]
	s_waitcnt vmcnt(2)
	v_readfirstlane_b32 s12, v10
	v_readfirstlane_b32 s13, v11
	s_add_u32 s14, s12, 1
	s_addc_u32 s15, s13, 0
	s_add_u32 s0, s14, s6
	s_addc_u32 s1, s15, s7
	s_cmp_eq_u64 s[0:1], 0
	s_cselect_b32 s1, s15, s1
	s_cselect_b32 s0, s14, s0
	s_and_b64 s[6:7], s[0:1], s[12:13]
	s_mul_i32 s7, s7, 24
	s_mul_hi_u32 s12, s6, 24
	s_mul_i32 s6, s6, 24
	s_add_i32 s7, s12, s7
	s_waitcnt vmcnt(0)
	v_lshl_add_u64 v[10:11], v[14:15], 0, s[6:7]
	v_mov_b32_e32 v20, s0
	global_store_dwordx2 v[10:11], v[22:23], off
	v_mov_b32_e32 v21, s1
	buffer_wbl2 sc0 sc1
	s_waitcnt vmcnt(0)
	global_atomic_cmpswap_x2 v[20:21], v35, v[20:23], s[2:3] offset:24 sc0 sc1
	s_waitcnt vmcnt(0)
	v_cmp_ne_u64_e32 vcc, v[20:21], v[22:23]
	s_and_b64 exec, exec, vcc
	s_cbranch_execz .LBB1_29
; %bb.110:                              ;   in Loop: Header=BB1_30 Depth=1
	s_mov_b64 s[6:7], 0
.LBB1_111:                              ;   Parent Loop BB1_30 Depth=1
                                        ; =>  This Inner Loop Header: Depth=2
	s_sleep 1
	global_store_dwordx2 v[10:11], v[20:21], off
	v_mov_b32_e32 v18, s0
	v_mov_b32_e32 v19, s1
	buffer_wbl2 sc0 sc1
	s_waitcnt vmcnt(0)
	global_atomic_cmpswap_x2 v[14:15], v35, v[18:21], s[2:3] offset:24 sc0 sc1
	s_waitcnt vmcnt(0)
	v_cmp_eq_u64_e32 vcc, v[14:15], v[20:21]
	s_or_b64 s[6:7], vcc, s[6:7]
	v_mov_b64_e32 v[20:21], v[14:15]
	s_andn2_b64 exec, exec, s[6:7]
	s_cbranch_execnz .LBB1_111
	s_branch .LBB1_29
.LBB1_112:
                                        ; implicit-def: $vgpr8_vgpr9
	s_cbranch_execnz .LBB1_114
	s_branch .LBB1_140
.LBB1_113:
	s_or_b64 exec, exec, s[4:5]
	s_branch .LBB1_140
.LBB1_114:
	v_readfirstlane_b32 s0, v52
	v_mov_b64_e32 v[0:1], 0
	s_nop 0
	v_cmp_eq_u32_e64 s[0:1], s0, v52
	s_and_saveexec_b64 s[4:5], s[0:1]
	s_cbranch_execz .LBB1_120
; %bb.115:
	v_mov_b32_e32 v5, 0
	global_load_dwordx2 v[10:11], v5, s[2:3] offset:24 sc0 sc1
	s_waitcnt vmcnt(0)
	buffer_inv sc0 sc1
	global_load_dwordx2 v[0:1], v5, s[2:3] offset:40
	global_load_dwordx2 v[8:9], v5, s[2:3]
	s_waitcnt vmcnt(1)
	v_and_b32_e32 v0, v0, v10
	v_and_b32_e32 v1, v1, v11
	v_mul_lo_u32 v1, v1, 24
	v_mul_hi_u32 v14, v0, 24
	v_add_u32_e32 v1, v14, v1
	v_mul_lo_u32 v0, v0, 24
	s_waitcnt vmcnt(0)
	v_lshl_add_u64 v[0:1], v[8:9], 0, v[0:1]
	global_load_dwordx2 v[8:9], v[0:1], off sc0 sc1
	s_waitcnt vmcnt(0)
	global_atomic_cmpswap_x2 v[0:1], v5, v[8:11], s[2:3] offset:24 sc0 sc1
	s_waitcnt vmcnt(0)
	buffer_inv sc0 sc1
	v_cmp_ne_u64_e32 vcc, v[0:1], v[10:11]
	s_and_saveexec_b64 s[6:7], vcc
	s_cbranch_execz .LBB1_119
; %bb.116:
	s_mov_b64 s[10:11], 0
.LBB1_117:                              ; =>This Inner Loop Header: Depth=1
	s_sleep 1
	global_load_dwordx2 v[8:9], v5, s[2:3] offset:40
	global_load_dwordx2 v[14:15], v5, s[2:3]
	v_mov_b64_e32 v[10:11], v[0:1]
	s_waitcnt vmcnt(1)
	v_and_b32_e32 v0, v8, v10
	s_waitcnt vmcnt(0)
	v_mad_u64_u32 v[0:1], s[12:13], v0, 24, v[14:15]
	v_and_b32_e32 v9, v9, v11
	v_mov_b32_e32 v8, v1
	v_mad_u64_u32 v[8:9], s[12:13], v9, 24, v[8:9]
	v_mov_b32_e32 v1, v8
	global_load_dwordx2 v[8:9], v[0:1], off sc0 sc1
	s_waitcnt vmcnt(0)
	global_atomic_cmpswap_x2 v[0:1], v5, v[8:11], s[2:3] offset:24 sc0 sc1
	s_waitcnt vmcnt(0)
	buffer_inv sc0 sc1
	v_cmp_eq_u64_e32 vcc, v[0:1], v[10:11]
	s_or_b64 s[10:11], vcc, s[10:11]
	s_andn2_b64 exec, exec, s[10:11]
	s_cbranch_execnz .LBB1_117
; %bb.118:
	s_or_b64 exec, exec, s[10:11]
.LBB1_119:
	s_or_b64 exec, exec, s[6:7]
.LBB1_120:
	s_or_b64 exec, exec, s[4:5]
	v_mov_b32_e32 v35, 0
	global_load_dwordx2 v[14:15], v35, s[2:3] offset:40
	global_load_dwordx4 v[8:11], v35, s[2:3]
	v_readfirstlane_b32 s5, v1
	v_readfirstlane_b32 s4, v0
	s_mov_b64 s[6:7], exec
	s_waitcnt vmcnt(1)
	v_readfirstlane_b32 s10, v14
	v_readfirstlane_b32 s11, v15
	s_and_b64 s[10:11], s[10:11], s[4:5]
	s_mul_i32 s12, s11, 24
	s_mul_hi_u32 s13, s10, 24
	s_add_i32 s13, s13, s12
	s_mul_i32 s12, s10, 24
	s_waitcnt vmcnt(0)
	v_lshl_add_u64 v[0:1], v[8:9], 0, s[12:13]
	s_and_saveexec_b64 s[12:13], s[0:1]
	s_cbranch_execz .LBB1_122
; %bb.121:
	v_mov_b64_e32 v[14:15], s[6:7]
	v_mov_b32_e32 v16, 2
	v_mov_b32_e32 v17, 1
	global_store_dwordx4 v[0:1], v[14:17], off offset:8
.LBB1_122:
	s_or_b64 exec, exec, s[12:13]
	s_lshl_b64 s[6:7], s[10:11], 12
	v_lshl_add_u64 v[16:17], v[10:11], 0, s[6:7]
	s_movk_i32 s6, 0xff1f
	s_mov_b32 s12, 0
	v_and_or_b32 v12, v12, s6, 32
	v_mov_b32_e32 v14, v35
	v_mov_b32_e32 v15, v35
	v_readfirstlane_b32 s6, v16
	v_readfirstlane_b32 s7, v17
	s_mov_b32 s13, s12
	s_mov_b32 s14, s12
	;; [unrolled: 1-line block ×3, first 2 shown]
	s_nop 1
	global_store_dwordx4 v34, v[12:15], s[6:7]
	v_mov_b64_e32 v[10:11], s[12:13]
	s_nop 0
	v_mov_b64_e32 v[12:13], s[14:15]
	global_store_dwordx4 v34, v[10:13], s[6:7] offset:16
	global_store_dwordx4 v34, v[10:13], s[6:7] offset:32
	;; [unrolled: 1-line block ×3, first 2 shown]
	s_and_saveexec_b64 s[6:7], s[0:1]
	s_cbranch_execz .LBB1_130
; %bb.123:
	v_mov_b32_e32 v5, 0
	global_load_dwordx2 v[20:21], v5, s[2:3] offset:32 sc0 sc1
	global_load_dwordx2 v[10:11], v5, s[2:3] offset:40
	v_mov_b32_e32 v18, s4
	v_mov_b32_e32 v19, s5
	s_waitcnt vmcnt(0)
	v_readfirstlane_b32 s10, v10
	v_readfirstlane_b32 s11, v11
	s_and_b64 s[10:11], s[10:11], s[4:5]
	s_mul_i32 s11, s11, 24
	s_mul_hi_u32 s12, s10, 24
	s_mul_i32 s10, s10, 24
	s_add_i32 s11, s12, s11
	v_lshl_add_u64 v[12:13], v[8:9], 0, s[10:11]
	global_store_dwordx2 v[12:13], v[20:21], off
	buffer_wbl2 sc0 sc1
	s_waitcnt vmcnt(0)
	global_atomic_cmpswap_x2 v[10:11], v5, v[18:21], s[2:3] offset:32 sc0 sc1
	s_waitcnt vmcnt(0)
	v_cmp_ne_u64_e32 vcc, v[10:11], v[20:21]
	s_and_saveexec_b64 s[10:11], vcc
	s_cbranch_execz .LBB1_126
; %bb.124:
	s_mov_b64 s[12:13], 0
.LBB1_125:                              ; =>This Inner Loop Header: Depth=1
	s_sleep 1
	global_store_dwordx2 v[12:13], v[10:11], off
	v_mov_b32_e32 v8, s4
	v_mov_b32_e32 v9, s5
	buffer_wbl2 sc0 sc1
	s_waitcnt vmcnt(0)
	global_atomic_cmpswap_x2 v[8:9], v5, v[8:11], s[2:3] offset:32 sc0 sc1
	s_waitcnt vmcnt(0)
	v_cmp_eq_u64_e32 vcc, v[8:9], v[10:11]
	s_or_b64 s[12:13], vcc, s[12:13]
	v_mov_b64_e32 v[10:11], v[8:9]
	s_andn2_b64 exec, exec, s[12:13]
	s_cbranch_execnz .LBB1_125
.LBB1_126:
	s_or_b64 exec, exec, s[10:11]
	v_mov_b32_e32 v11, 0
	global_load_dwordx2 v[8:9], v11, s[2:3] offset:16
	s_mov_b64 s[10:11], exec
	v_mbcnt_lo_u32_b32 v5, s10, 0
	v_mbcnt_hi_u32_b32 v5, s11, v5
	v_cmp_eq_u32_e32 vcc, 0, v5
	s_and_saveexec_b64 s[12:13], vcc
	s_cbranch_execz .LBB1_128
; %bb.127:
	s_bcnt1_i32_b64 s10, s[10:11]
	v_mov_b32_e32 v10, s10
	buffer_wbl2 sc0 sc1
	s_waitcnt vmcnt(0)
	global_atomic_add_x2 v[8:9], v[10:11], off offset:8 sc1
.LBB1_128:
	s_or_b64 exec, exec, s[12:13]
	s_waitcnt vmcnt(0)
	global_load_dwordx2 v[10:11], v[8:9], off offset:16
	s_waitcnt vmcnt(0)
	v_cmp_eq_u64_e32 vcc, 0, v[10:11]
	s_cbranch_vccnz .LBB1_130
; %bb.129:
	global_load_dword v8, v[8:9], off offset:24
	v_mov_b32_e32 v9, 0
	s_waitcnt vmcnt(0)
	v_readfirstlane_b32 s10, v8
	s_and_b32 m0, s10, 0xffffff
	buffer_wbl2 sc0 sc1
	global_store_dwordx2 v[10:11], v[8:9], off sc0 sc1
	s_sendmsg sendmsg(MSG_INTERRUPT)
.LBB1_130:
	s_or_b64 exec, exec, s[6:7]
	v_lshl_add_u64 v[8:9], v[16:17], 0, v[34:35]
	s_branch .LBB1_134
.LBB1_131:                              ;   in Loop: Header=BB1_134 Depth=1
	s_or_b64 exec, exec, s[6:7]
	v_readfirstlane_b32 s6, v5
	s_cmp_eq_u32 s6, 0
	s_cbranch_scc1 .LBB1_133
; %bb.132:                              ;   in Loop: Header=BB1_134 Depth=1
	s_sleep 1
	s_cbranch_execnz .LBB1_134
	s_branch .LBB1_136
.LBB1_133:
	s_branch .LBB1_136
.LBB1_134:                              ; =>This Inner Loop Header: Depth=1
	v_mov_b32_e32 v5, 1
	s_and_saveexec_b64 s[6:7], s[0:1]
	s_cbranch_execz .LBB1_131
; %bb.135:                              ;   in Loop: Header=BB1_134 Depth=1
	global_load_dword v5, v[0:1], off offset:20 sc0 sc1
	s_waitcnt vmcnt(0)
	buffer_inv sc0 sc1
	v_and_b32_e32 v5, 1, v5
	s_branch .LBB1_131
.LBB1_136:
	global_load_dwordx2 v[8:9], v[8:9], off
	s_and_saveexec_b64 s[6:7], s[0:1]
	s_cbranch_execz .LBB1_139
; %bb.137:
	v_mov_b32_e32 v5, 0
	global_load_dwordx2 v[0:1], v5, s[2:3] offset:40
	global_load_dwordx2 v[14:15], v5, s[2:3] offset:24 sc0 sc1
	global_load_dwordx2 v[10:11], v5, s[2:3]
	s_waitcnt vmcnt(2)
	v_readfirstlane_b32 s10, v0
	v_readfirstlane_b32 s11, v1
	s_add_u32 s12, s10, 1
	s_addc_u32 s13, s11, 0
	s_add_u32 s0, s12, s4
	s_addc_u32 s1, s13, s5
	s_cmp_eq_u64 s[0:1], 0
	s_cselect_b32 s1, s13, s1
	s_cselect_b32 s0, s12, s0
	s_and_b64 s[4:5], s[0:1], s[10:11]
	s_mul_i32 s5, s5, 24
	s_mul_hi_u32 s10, s4, 24
	s_mul_i32 s4, s4, 24
	s_add_i32 s5, s10, s5
	s_waitcnt vmcnt(0)
	v_lshl_add_u64 v[0:1], v[10:11], 0, s[4:5]
	v_mov_b32_e32 v12, s0
	global_store_dwordx2 v[0:1], v[14:15], off
	v_mov_b32_e32 v13, s1
	buffer_wbl2 sc0 sc1
	s_waitcnt vmcnt(0)
	global_atomic_cmpswap_x2 v[12:13], v5, v[12:15], s[2:3] offset:24 sc0 sc1
	s_mov_b64 s[4:5], 0
	s_waitcnt vmcnt(0)
	v_cmp_ne_u64_e32 vcc, v[12:13], v[14:15]
	s_and_b64 exec, exec, vcc
	s_cbranch_execz .LBB1_139
.LBB1_138:                              ; =>This Inner Loop Header: Depth=1
	s_sleep 1
	global_store_dwordx2 v[0:1], v[12:13], off
	v_mov_b32_e32 v10, s0
	v_mov_b32_e32 v11, s1
	buffer_wbl2 sc0 sc1
	s_waitcnt vmcnt(0)
	global_atomic_cmpswap_x2 v[10:11], v5, v[10:13], s[2:3] offset:24 sc0 sc1
	s_waitcnt vmcnt(0)
	v_cmp_eq_u64_e32 vcc, v[10:11], v[12:13]
	s_or_b64 s[4:5], vcc, s[4:5]
	v_mov_b64_e32 v[12:13], v[10:11]
	s_andn2_b64 exec, exec, s[4:5]
	s_cbranch_execnz .LBB1_138
.LBB1_139:
	s_or_b64 exec, exec, s[6:7]
.LBB1_140:
	s_mov_b64 s[0:1], 0
	v_mov_b64_e32 v[0:1], v[2:3]
.LBB1_141:                              ; =>This Inner Loop Header: Depth=1
	global_load_ubyte v5, v[0:1], off
	v_lshl_add_u64 v[0:1], v[0:1], 0, 1
	s_waitcnt vmcnt(0)
	v_cmp_eq_u16_e32 vcc, 0, v5
	s_or_b64 s[0:1], vcc, s[0:1]
	s_andn2_b64 exec, exec, s[0:1]
	s_cbranch_execnz .LBB1_141
; %bb.142:
	s_or_b64 exec, exec, s[0:1]
	s_mov_b64 s[4:5], 0
	v_cmp_ne_u64_e32 vcc, 0, v[2:3]
	s_and_saveexec_b64 s[0:1], vcc
	s_xor_b64 s[6:7], exec, s[0:1]
	s_cbranch_execz .LBB1_228
; %bb.143:
	v_sub_u32_e32 v0, v0, v2
	v_ashrrev_i32_e32 v1, 31, v0
	v_and_b32_e32 v32, 2, v8
	v_mov_b32_e32 v35, 0
	v_and_b32_e32 v8, -3, v8
	s_mov_b32 s18, 0
	s_movk_i32 s19, 0x1e0
	v_mov_b32_e32 v14, 2
	v_mov_b32_e32 v15, 1
	s_branch .LBB1_145
.LBB1_144:                              ;   in Loop: Header=BB1_145 Depth=1
	s_or_b64 exec, exec, s[12:13]
	v_sub_co_u32_e32 v0, vcc, v0, v38
	v_lshl_add_u64 v[2:3], v[2:3], 0, v[38:39]
	s_nop 0
	v_subb_co_u32_e32 v1, vcc, v1, v39, vcc
	v_cmp_eq_u64_e32 vcc, 0, v[0:1]
	s_or_b64 s[4:5], vcc, s[4:5]
	s_andn2_b64 exec, exec, s[4:5]
	s_cbranch_execz .LBB1_227
.LBB1_145:                              ; =>This Loop Header: Depth=1
                                        ;     Child Loop BB1_148 Depth 2
                                        ;     Child Loop BB1_156 Depth 2
	;; [unrolled: 1-line block ×11, first 2 shown]
	v_cmp_gt_u64_e32 vcc, 56, v[0:1]
	v_lshl_add_u64 v[18:19], v[2:3], 0, 8
	s_nop 0
	v_cndmask_b32_e32 v39, 0, v1, vcc
	v_cndmask_b32_e32 v38, 56, v0, vcc
	v_cmp_gt_u64_e32 vcc, 8, v[0:1]
	s_and_saveexec_b64 s[0:1], vcc
	s_xor_b64 s[0:1], exec, s[0:1]
	s_cbranch_execz .LBB1_151
; %bb.146:                              ;   in Loop: Header=BB1_145 Depth=1
	v_mov_b64_e32 v[10:11], 0
	v_cmp_ne_u64_e32 vcc, 0, v[0:1]
	s_and_saveexec_b64 s[10:11], vcc
	s_cbranch_execz .LBB1_150
; %bb.147:                              ;   in Loop: Header=BB1_145 Depth=1
	v_lshlrev_b64 v[12:13], 3, v[38:39]
	s_mov_b64 s[12:13], 0
	v_mov_b64_e32 v[10:11], 0
	v_mov_b64_e32 v[16:17], v[2:3]
	s_mov_b64 s[14:15], 0
.LBB1_148:                              ;   Parent Loop BB1_145 Depth=1
                                        ; =>  This Inner Loop Header: Depth=2
	global_load_ubyte v5, v[16:17], off
	v_mov_b32_e32 v19, s18
	v_lshl_add_u64 v[16:17], v[16:17], 0, 1
	s_waitcnt vmcnt(0)
	v_and_b32_e32 v18, 0xffff, v5
	v_lshlrev_b64 v[18:19], s14, v[18:19]
	s_add_u32 s14, s14, 8
	s_addc_u32 s15, s15, 0
	v_cmp_eq_u32_e32 vcc, s14, v12
	v_or_b32_e32 v11, v19, v11
	s_or_b64 s[12:13], vcc, s[12:13]
	v_or_b32_e32 v10, v18, v10
	s_andn2_b64 exec, exec, s[12:13]
	s_cbranch_execnz .LBB1_148
; %bb.149:                              ;   in Loop: Header=BB1_145 Depth=1
	s_or_b64 exec, exec, s[12:13]
.LBB1_150:                              ;   in Loop: Header=BB1_145 Depth=1
	s_or_b64 exec, exec, s[10:11]
	v_mov_b64_e32 v[18:19], v[2:3]
.LBB1_151:                              ;   in Loop: Header=BB1_145 Depth=1
	s_or_saveexec_b64 s[0:1], s[0:1]
	v_mov_b32_e32 v5, 0
	s_xor_b64 exec, exec, s[0:1]
	s_cbranch_execz .LBB1_153
; %bb.152:                              ;   in Loop: Header=BB1_145 Depth=1
	global_load_dwordx2 v[10:11], v[2:3], off
	v_add_u32_e32 v5, -8, v38
.LBB1_153:                              ;   in Loop: Header=BB1_145 Depth=1
	s_or_b64 exec, exec, s[0:1]
	v_cmp_gt_u32_e32 vcc, 8, v5
	v_lshl_add_u64 v[12:13], v[18:19], 0, 8
                                        ; implicit-def: $vgpr16_vgpr17
	s_and_saveexec_b64 s[0:1], vcc
	s_xor_b64 s[0:1], exec, s[0:1]
	s_cbranch_execz .LBB1_159
; %bb.154:                              ;   in Loop: Header=BB1_145 Depth=1
	v_cmp_ne_u32_e32 vcc, 0, v5
	v_mov_b64_e32 v[16:17], 0
	s_and_saveexec_b64 s[10:11], vcc
	s_cbranch_execz .LBB1_158
; %bb.155:                              ;   in Loop: Header=BB1_145 Depth=1
	s_mov_b64 s[12:13], 0
	v_mov_b64_e32 v[16:17], 0
	s_mov_b64 s[14:15], 0
	s_mov_b64 s[16:17], 0
.LBB1_156:                              ;   Parent Loop BB1_145 Depth=1
                                        ; =>  This Inner Loop Header: Depth=2
	v_lshl_add_u64 v[12:13], v[18:19], 0, s[16:17]
	global_load_ubyte v12, v[12:13], off
	s_add_u32 s16, s16, 1
	v_mov_b32_e32 v13, s18
	s_addc_u32 s17, s17, 0
	v_cmp_eq_u32_e32 vcc, s16, v5
	s_waitcnt vmcnt(0)
	v_and_b32_e32 v12, 0xffff, v12
	v_lshlrev_b64 v[12:13], s14, v[12:13]
	s_add_u32 s14, s14, 8
	s_addc_u32 s15, s15, 0
	v_or_b32_e32 v17, v13, v17
	s_or_b64 s[12:13], vcc, s[12:13]
	v_or_b32_e32 v16, v12, v16
	s_andn2_b64 exec, exec, s[12:13]
	s_cbranch_execnz .LBB1_156
; %bb.157:                              ;   in Loop: Header=BB1_145 Depth=1
	s_or_b64 exec, exec, s[12:13]
.LBB1_158:                              ;   in Loop: Header=BB1_145 Depth=1
	s_or_b64 exec, exec, s[10:11]
	v_mov_b64_e32 v[12:13], v[18:19]
                                        ; implicit-def: $vgpr5
.LBB1_159:                              ;   in Loop: Header=BB1_145 Depth=1
	s_or_saveexec_b64 s[0:1], s[0:1]
	v_mov_b32_e32 v20, 0
	s_xor_b64 exec, exec, s[0:1]
	s_cbranch_execz .LBB1_161
; %bb.160:                              ;   in Loop: Header=BB1_145 Depth=1
	global_load_dwordx2 v[16:17], v[18:19], off
	v_add_u32_e32 v20, -8, v5
.LBB1_161:                              ;   in Loop: Header=BB1_145 Depth=1
	s_or_b64 exec, exec, s[0:1]
	v_cmp_gt_u32_e32 vcc, 8, v20
	v_lshl_add_u64 v[22:23], v[12:13], 0, 8
	s_and_saveexec_b64 s[0:1], vcc
	s_xor_b64 s[0:1], exec, s[0:1]
	s_cbranch_execz .LBB1_167
; %bb.162:                              ;   in Loop: Header=BB1_145 Depth=1
	v_cmp_ne_u32_e32 vcc, 0, v20
	v_mov_b64_e32 v[18:19], 0
	s_and_saveexec_b64 s[10:11], vcc
	s_cbranch_execz .LBB1_166
; %bb.163:                              ;   in Loop: Header=BB1_145 Depth=1
	s_mov_b64 s[12:13], 0
	v_mov_b64_e32 v[18:19], 0
	s_mov_b64 s[14:15], 0
	s_mov_b64 s[16:17], 0
.LBB1_164:                              ;   Parent Loop BB1_145 Depth=1
                                        ; =>  This Inner Loop Header: Depth=2
	v_lshl_add_u64 v[22:23], v[12:13], 0, s[16:17]
	global_load_ubyte v5, v[22:23], off
	s_add_u32 s16, s16, 1
	v_mov_b32_e32 v23, s18
	s_addc_u32 s17, s17, 0
	v_cmp_eq_u32_e32 vcc, s16, v20
	s_waitcnt vmcnt(0)
	v_and_b32_e32 v22, 0xffff, v5
	v_lshlrev_b64 v[22:23], s14, v[22:23]
	s_add_u32 s14, s14, 8
	s_addc_u32 s15, s15, 0
	v_or_b32_e32 v19, v23, v19
	s_or_b64 s[12:13], vcc, s[12:13]
	v_or_b32_e32 v18, v22, v18
	s_andn2_b64 exec, exec, s[12:13]
	s_cbranch_execnz .LBB1_164
; %bb.165:                              ;   in Loop: Header=BB1_145 Depth=1
	s_or_b64 exec, exec, s[12:13]
.LBB1_166:                              ;   in Loop: Header=BB1_145 Depth=1
	s_or_b64 exec, exec, s[10:11]
	v_mov_b64_e32 v[22:23], v[12:13]
                                        ; implicit-def: $vgpr20
.LBB1_167:                              ;   in Loop: Header=BB1_145 Depth=1
	s_or_saveexec_b64 s[0:1], s[0:1]
	v_mov_b32_e32 v5, 0
	s_xor_b64 exec, exec, s[0:1]
	s_cbranch_execz .LBB1_169
; %bb.168:                              ;   in Loop: Header=BB1_145 Depth=1
	global_load_dwordx2 v[18:19], v[12:13], off
	v_add_u32_e32 v5, -8, v20
.LBB1_169:                              ;   in Loop: Header=BB1_145 Depth=1
	s_or_b64 exec, exec, s[0:1]
	v_cmp_gt_u32_e32 vcc, 8, v5
	v_lshl_add_u64 v[12:13], v[22:23], 0, 8
                                        ; implicit-def: $vgpr20_vgpr21
	s_and_saveexec_b64 s[0:1], vcc
	s_xor_b64 s[0:1], exec, s[0:1]
	s_cbranch_execz .LBB1_175
; %bb.170:                              ;   in Loop: Header=BB1_145 Depth=1
	v_cmp_ne_u32_e32 vcc, 0, v5
	v_mov_b64_e32 v[20:21], 0
	s_and_saveexec_b64 s[10:11], vcc
	s_cbranch_execz .LBB1_174
; %bb.171:                              ;   in Loop: Header=BB1_145 Depth=1
	s_mov_b64 s[12:13], 0
	v_mov_b64_e32 v[20:21], 0
	s_mov_b64 s[14:15], 0
	s_mov_b64 s[16:17], 0
.LBB1_172:                              ;   Parent Loop BB1_145 Depth=1
                                        ; =>  This Inner Loop Header: Depth=2
	v_lshl_add_u64 v[12:13], v[22:23], 0, s[16:17]
	global_load_ubyte v12, v[12:13], off
	s_add_u32 s16, s16, 1
	v_mov_b32_e32 v13, s18
	s_addc_u32 s17, s17, 0
	v_cmp_eq_u32_e32 vcc, s16, v5
	s_waitcnt vmcnt(0)
	v_and_b32_e32 v12, 0xffff, v12
	v_lshlrev_b64 v[12:13], s14, v[12:13]
	s_add_u32 s14, s14, 8
	s_addc_u32 s15, s15, 0
	v_or_b32_e32 v21, v13, v21
	s_or_b64 s[12:13], vcc, s[12:13]
	v_or_b32_e32 v20, v12, v20
	s_andn2_b64 exec, exec, s[12:13]
	s_cbranch_execnz .LBB1_172
; %bb.173:                              ;   in Loop: Header=BB1_145 Depth=1
	s_or_b64 exec, exec, s[12:13]
.LBB1_174:                              ;   in Loop: Header=BB1_145 Depth=1
	s_or_b64 exec, exec, s[10:11]
	v_mov_b64_e32 v[12:13], v[22:23]
                                        ; implicit-def: $vgpr5
.LBB1_175:                              ;   in Loop: Header=BB1_145 Depth=1
	s_or_saveexec_b64 s[0:1], s[0:1]
	v_mov_b32_e32 v24, 0
	s_xor_b64 exec, exec, s[0:1]
	s_cbranch_execz .LBB1_177
; %bb.176:                              ;   in Loop: Header=BB1_145 Depth=1
	global_load_dwordx2 v[20:21], v[22:23], off
	v_add_u32_e32 v24, -8, v5
.LBB1_177:                              ;   in Loop: Header=BB1_145 Depth=1
	s_or_b64 exec, exec, s[0:1]
	v_cmp_gt_u32_e32 vcc, 8, v24
	v_lshl_add_u64 v[26:27], v[12:13], 0, 8
	s_and_saveexec_b64 s[0:1], vcc
	s_xor_b64 s[0:1], exec, s[0:1]
	s_cbranch_execz .LBB1_183
; %bb.178:                              ;   in Loop: Header=BB1_145 Depth=1
	v_cmp_ne_u32_e32 vcc, 0, v24
	v_mov_b64_e32 v[22:23], 0
	s_and_saveexec_b64 s[10:11], vcc
	s_cbranch_execz .LBB1_182
; %bb.179:                              ;   in Loop: Header=BB1_145 Depth=1
	s_mov_b64 s[12:13], 0
	v_mov_b64_e32 v[22:23], 0
	s_mov_b64 s[14:15], 0
	s_mov_b64 s[16:17], 0
.LBB1_180:                              ;   Parent Loop BB1_145 Depth=1
                                        ; =>  This Inner Loop Header: Depth=2
	v_lshl_add_u64 v[26:27], v[12:13], 0, s[16:17]
	global_load_ubyte v5, v[26:27], off
	s_add_u32 s16, s16, 1
	v_mov_b32_e32 v27, s18
	s_addc_u32 s17, s17, 0
	v_cmp_eq_u32_e32 vcc, s16, v24
	s_waitcnt vmcnt(0)
	v_and_b32_e32 v26, 0xffff, v5
	v_lshlrev_b64 v[26:27], s14, v[26:27]
	s_add_u32 s14, s14, 8
	s_addc_u32 s15, s15, 0
	v_or_b32_e32 v23, v27, v23
	s_or_b64 s[12:13], vcc, s[12:13]
	v_or_b32_e32 v22, v26, v22
	s_andn2_b64 exec, exec, s[12:13]
	s_cbranch_execnz .LBB1_180
; %bb.181:                              ;   in Loop: Header=BB1_145 Depth=1
	s_or_b64 exec, exec, s[12:13]
.LBB1_182:                              ;   in Loop: Header=BB1_145 Depth=1
	s_or_b64 exec, exec, s[10:11]
	v_mov_b64_e32 v[26:27], v[12:13]
                                        ; implicit-def: $vgpr24
.LBB1_183:                              ;   in Loop: Header=BB1_145 Depth=1
	s_or_saveexec_b64 s[0:1], s[0:1]
	v_mov_b32_e32 v5, 0
	s_xor_b64 exec, exec, s[0:1]
	s_cbranch_execz .LBB1_185
; %bb.184:                              ;   in Loop: Header=BB1_145 Depth=1
	global_load_dwordx2 v[22:23], v[12:13], off
	v_add_u32_e32 v5, -8, v24
.LBB1_185:                              ;   in Loop: Header=BB1_145 Depth=1
	s_or_b64 exec, exec, s[0:1]
	v_cmp_gt_u32_e32 vcc, 8, v5
	v_lshl_add_u64 v[12:13], v[26:27], 0, 8
                                        ; implicit-def: $vgpr24_vgpr25
	s_and_saveexec_b64 s[0:1], vcc
	s_xor_b64 s[0:1], exec, s[0:1]
	s_cbranch_execz .LBB1_191
; %bb.186:                              ;   in Loop: Header=BB1_145 Depth=1
	v_cmp_ne_u32_e32 vcc, 0, v5
	v_mov_b64_e32 v[24:25], 0
	s_and_saveexec_b64 s[10:11], vcc
	s_cbranch_execz .LBB1_190
; %bb.187:                              ;   in Loop: Header=BB1_145 Depth=1
	s_mov_b64 s[12:13], 0
	v_mov_b64_e32 v[24:25], 0
	s_mov_b64 s[14:15], 0
	s_mov_b64 s[16:17], 0
.LBB1_188:                              ;   Parent Loop BB1_145 Depth=1
                                        ; =>  This Inner Loop Header: Depth=2
	v_lshl_add_u64 v[12:13], v[26:27], 0, s[16:17]
	global_load_ubyte v12, v[12:13], off
	s_add_u32 s16, s16, 1
	v_mov_b32_e32 v13, s18
	s_addc_u32 s17, s17, 0
	v_cmp_eq_u32_e32 vcc, s16, v5
	s_waitcnt vmcnt(0)
	v_and_b32_e32 v12, 0xffff, v12
	v_lshlrev_b64 v[12:13], s14, v[12:13]
	s_add_u32 s14, s14, 8
	s_addc_u32 s15, s15, 0
	v_or_b32_e32 v25, v13, v25
	s_or_b64 s[12:13], vcc, s[12:13]
	v_or_b32_e32 v24, v12, v24
	s_andn2_b64 exec, exec, s[12:13]
	s_cbranch_execnz .LBB1_188
; %bb.189:                              ;   in Loop: Header=BB1_145 Depth=1
	s_or_b64 exec, exec, s[12:13]
.LBB1_190:                              ;   in Loop: Header=BB1_145 Depth=1
	s_or_b64 exec, exec, s[10:11]
	v_mov_b64_e32 v[12:13], v[26:27]
                                        ; implicit-def: $vgpr5
.LBB1_191:                              ;   in Loop: Header=BB1_145 Depth=1
	s_or_saveexec_b64 s[0:1], s[0:1]
	v_mov_b32_e32 v28, 0
	s_xor_b64 exec, exec, s[0:1]
	s_cbranch_execz .LBB1_193
; %bb.192:                              ;   in Loop: Header=BB1_145 Depth=1
	global_load_dwordx2 v[24:25], v[26:27], off
	v_add_u32_e32 v28, -8, v5
.LBB1_193:                              ;   in Loop: Header=BB1_145 Depth=1
	s_or_b64 exec, exec, s[0:1]
	v_cmp_gt_u32_e32 vcc, 8, v28
	s_and_saveexec_b64 s[0:1], vcc
	s_xor_b64 s[0:1], exec, s[0:1]
	s_cbranch_execz .LBB1_199
; %bb.194:                              ;   in Loop: Header=BB1_145 Depth=1
	v_cmp_ne_u32_e32 vcc, 0, v28
	v_mov_b64_e32 v[26:27], 0
	s_and_saveexec_b64 s[10:11], vcc
	s_cbranch_execz .LBB1_198
; %bb.195:                              ;   in Loop: Header=BB1_145 Depth=1
	s_mov_b64 s[12:13], 0
	v_mov_b64_e32 v[26:27], 0
	s_mov_b64 s[14:15], 0
.LBB1_196:                              ;   Parent Loop BB1_145 Depth=1
                                        ; =>  This Inner Loop Header: Depth=2
	global_load_ubyte v5, v[12:13], off
	v_mov_b32_e32 v31, s18
	v_add_u32_e32 v28, -1, v28
	v_cmp_eq_u32_e32 vcc, 0, v28
	v_lshl_add_u64 v[12:13], v[12:13], 0, 1
	s_waitcnt vmcnt(0)
	v_and_b32_e32 v30, 0xffff, v5
	v_lshlrev_b64 v[30:31], s14, v[30:31]
	s_add_u32 s14, s14, 8
	s_addc_u32 s15, s15, 0
	v_or_b32_e32 v27, v31, v27
	s_or_b64 s[12:13], vcc, s[12:13]
	v_or_b32_e32 v26, v30, v26
	s_andn2_b64 exec, exec, s[12:13]
	s_cbranch_execnz .LBB1_196
; %bb.197:                              ;   in Loop: Header=BB1_145 Depth=1
	s_or_b64 exec, exec, s[12:13]
.LBB1_198:                              ;   in Loop: Header=BB1_145 Depth=1
	s_or_b64 exec, exec, s[10:11]
                                        ; implicit-def: $vgpr12_vgpr13
.LBB1_199:                              ;   in Loop: Header=BB1_145 Depth=1
	s_andn2_saveexec_b64 s[0:1], s[0:1]
	s_cbranch_execz .LBB1_201
; %bb.200:                              ;   in Loop: Header=BB1_145 Depth=1
	global_load_dwordx2 v[26:27], v[12:13], off
.LBB1_201:                              ;   in Loop: Header=BB1_145 Depth=1
	s_or_b64 exec, exec, s[0:1]
	v_readfirstlane_b32 s0, v52
	v_mov_b64_e32 v[12:13], 0
	s_nop 0
	v_cmp_eq_u32_e64 s[0:1], s0, v52
	s_and_saveexec_b64 s[10:11], s[0:1]
	s_cbranch_execz .LBB1_207
; %bb.202:                              ;   in Loop: Header=BB1_145 Depth=1
	global_load_dwordx2 v[30:31], v35, s[2:3] offset:24 sc0 sc1
	s_waitcnt vmcnt(0)
	buffer_inv sc0 sc1
	global_load_dwordx2 v[12:13], v35, s[2:3] offset:40
	global_load_dwordx2 v[28:29], v35, s[2:3]
	s_waitcnt vmcnt(1)
	v_and_b32_e32 v5, v12, v30
	v_and_b32_e32 v12, v13, v31
	v_mul_lo_u32 v12, v12, 24
	v_mul_hi_u32 v13, v5, 24
	v_add_u32_e32 v13, v13, v12
	v_mul_lo_u32 v12, v5, 24
	s_waitcnt vmcnt(0)
	v_lshl_add_u64 v[12:13], v[28:29], 0, v[12:13]
	global_load_dwordx2 v[28:29], v[12:13], off sc0 sc1
	s_waitcnt vmcnt(0)
	global_atomic_cmpswap_x2 v[12:13], v35, v[28:31], s[2:3] offset:24 sc0 sc1
	s_waitcnt vmcnt(0)
	buffer_inv sc0 sc1
	v_cmp_ne_u64_e32 vcc, v[12:13], v[30:31]
	s_and_saveexec_b64 s[12:13], vcc
	s_cbranch_execz .LBB1_206
; %bb.203:                              ;   in Loop: Header=BB1_145 Depth=1
	s_mov_b64 s[14:15], 0
.LBB1_204:                              ;   Parent Loop BB1_145 Depth=1
                                        ; =>  This Inner Loop Header: Depth=2
	s_sleep 1
	global_load_dwordx2 v[28:29], v35, s[2:3] offset:40
	global_load_dwordx2 v[48:49], v35, s[2:3]
	v_mov_b64_e32 v[30:31], v[12:13]
	s_waitcnt vmcnt(1)
	v_and_b32_e32 v12, v28, v30
	s_waitcnt vmcnt(0)
	v_mad_u64_u32 v[12:13], s[16:17], v12, 24, v[48:49]
	v_and_b32_e32 v5, v29, v31
	v_mov_b32_e32 v28, v13
	v_mad_u64_u32 v[28:29], s[16:17], v5, 24, v[28:29]
	v_mov_b32_e32 v13, v28
	global_load_dwordx2 v[28:29], v[12:13], off sc0 sc1
	s_waitcnt vmcnt(0)
	global_atomic_cmpswap_x2 v[12:13], v35, v[28:31], s[2:3] offset:24 sc0 sc1
	s_waitcnt vmcnt(0)
	buffer_inv sc0 sc1
	v_cmp_eq_u64_e32 vcc, v[12:13], v[30:31]
	s_or_b64 s[14:15], vcc, s[14:15]
	s_andn2_b64 exec, exec, s[14:15]
	s_cbranch_execnz .LBB1_204
; %bb.205:                              ;   in Loop: Header=BB1_145 Depth=1
	s_or_b64 exec, exec, s[14:15]
.LBB1_206:                              ;   in Loop: Header=BB1_145 Depth=1
	s_or_b64 exec, exec, s[12:13]
.LBB1_207:                              ;   in Loop: Header=BB1_145 Depth=1
	s_or_b64 exec, exec, s[10:11]
	global_load_dwordx2 v[48:49], v35, s[2:3] offset:40
	global_load_dwordx4 v[28:31], v35, s[2:3]
	v_readfirstlane_b32 s11, v13
	v_readfirstlane_b32 s10, v12
	s_mov_b64 s[12:13], exec
	s_waitcnt vmcnt(1)
	v_readfirstlane_b32 s14, v48
	v_readfirstlane_b32 s15, v49
	s_and_b64 s[14:15], s[14:15], s[10:11]
	s_mul_i32 s16, s15, 24
	s_mul_hi_u32 s17, s14, 24
	s_add_i32 s17, s17, s16
	s_mul_i32 s16, s14, 24
	s_waitcnt vmcnt(0)
	v_lshl_add_u64 v[48:49], v[28:29], 0, s[16:17]
	s_and_saveexec_b64 s[16:17], s[0:1]
	s_cbranch_execz .LBB1_209
; %bb.208:                              ;   in Loop: Header=BB1_145 Depth=1
	v_mov_b64_e32 v[12:13], s[12:13]
	global_store_dwordx4 v[48:49], v[12:15], off offset:8
.LBB1_209:                              ;   in Loop: Header=BB1_145 Depth=1
	s_or_b64 exec, exec, s[16:17]
	v_cmp_gt_u64_e32 vcc, 57, v[0:1]
	s_lshl_b64 s[12:13], s[14:15], 12
	v_and_b32_e32 v8, 0xffffff1f, v8
	v_cndmask_b32_e32 v5, 0, v32, vcc
	v_lshl_add_u64 v[12:13], v[30:31], 0, s[12:13]
	v_lshl_add_u32 v30, v38, 2, 28
	v_or_b32_e32 v5, v8, v5
	v_and_or_b32 v8, v30, s19, v5
	v_readfirstlane_b32 s12, v12
	v_readfirstlane_b32 s13, v13
	s_nop 4
	global_store_dwordx4 v34, v[8:11], s[12:13]
	global_store_dwordx4 v34, v[16:19], s[12:13] offset:16
	global_store_dwordx4 v34, v[20:23], s[12:13] offset:32
	;; [unrolled: 1-line block ×3, first 2 shown]
	s_and_saveexec_b64 s[12:13], s[0:1]
	s_cbranch_execz .LBB1_217
; %bb.210:                              ;   in Loop: Header=BB1_145 Depth=1
	global_load_dwordx2 v[20:21], v35, s[2:3] offset:32 sc0 sc1
	global_load_dwordx2 v[8:9], v35, s[2:3] offset:40
	v_mov_b32_e32 v18, s10
	v_mov_b32_e32 v19, s11
	s_waitcnt vmcnt(0)
	v_readfirstlane_b32 s14, v8
	v_readfirstlane_b32 s15, v9
	s_and_b64 s[14:15], s[14:15], s[10:11]
	s_mul_i32 s15, s15, 24
	s_mul_hi_u32 s16, s14, 24
	s_mul_i32 s14, s14, 24
	s_add_i32 s15, s16, s15
	v_lshl_add_u64 v[16:17], v[28:29], 0, s[14:15]
	global_store_dwordx2 v[16:17], v[20:21], off
	buffer_wbl2 sc0 sc1
	s_waitcnt vmcnt(0)
	global_atomic_cmpswap_x2 v[10:11], v35, v[18:21], s[2:3] offset:32 sc0 sc1
	s_waitcnt vmcnt(0)
	v_cmp_ne_u64_e32 vcc, v[10:11], v[20:21]
	s_and_saveexec_b64 s[14:15], vcc
	s_cbranch_execz .LBB1_213
; %bb.211:                              ;   in Loop: Header=BB1_145 Depth=1
	s_mov_b64 s[16:17], 0
.LBB1_212:                              ;   Parent Loop BB1_145 Depth=1
                                        ; =>  This Inner Loop Header: Depth=2
	s_sleep 1
	global_store_dwordx2 v[16:17], v[10:11], off
	v_mov_b32_e32 v8, s10
	v_mov_b32_e32 v9, s11
	buffer_wbl2 sc0 sc1
	s_waitcnt vmcnt(0)
	global_atomic_cmpswap_x2 v[8:9], v35, v[8:11], s[2:3] offset:32 sc0 sc1
	s_waitcnt vmcnt(0)
	v_cmp_eq_u64_e32 vcc, v[8:9], v[10:11]
	s_or_b64 s[16:17], vcc, s[16:17]
	v_mov_b64_e32 v[10:11], v[8:9]
	s_andn2_b64 exec, exec, s[16:17]
	s_cbranch_execnz .LBB1_212
.LBB1_213:                              ;   in Loop: Header=BB1_145 Depth=1
	s_or_b64 exec, exec, s[14:15]
	global_load_dwordx2 v[8:9], v35, s[2:3] offset:16
	s_mov_b64 s[16:17], exec
	v_mbcnt_lo_u32_b32 v5, s16, 0
	v_mbcnt_hi_u32_b32 v5, s17, v5
	v_cmp_eq_u32_e32 vcc, 0, v5
	s_and_saveexec_b64 s[14:15], vcc
	s_cbranch_execz .LBB1_215
; %bb.214:                              ;   in Loop: Header=BB1_145 Depth=1
	s_bcnt1_i32_b64 s16, s[16:17]
	v_mov_b32_e32 v10, s16
	v_mov_b32_e32 v11, v35
	buffer_wbl2 sc0 sc1
	s_waitcnt vmcnt(0)
	global_atomic_add_x2 v[8:9], v[10:11], off offset:8 sc1
.LBB1_215:                              ;   in Loop: Header=BB1_145 Depth=1
	s_or_b64 exec, exec, s[14:15]
	s_waitcnt vmcnt(0)
	global_load_dwordx2 v[10:11], v[8:9], off offset:16
	s_waitcnt vmcnt(0)
	v_cmp_eq_u64_e32 vcc, 0, v[10:11]
	s_cbranch_vccnz .LBB1_217
; %bb.216:                              ;   in Loop: Header=BB1_145 Depth=1
	global_load_dword v8, v[8:9], off offset:24
	v_mov_b32_e32 v9, v35
	s_waitcnt vmcnt(0)
	v_readfirstlane_b32 s14, v8
	s_and_b32 m0, s14, 0xffffff
	buffer_wbl2 sc0 sc1
	global_store_dwordx2 v[10:11], v[8:9], off sc0 sc1
	s_sendmsg sendmsg(MSG_INTERRUPT)
.LBB1_217:                              ;   in Loop: Header=BB1_145 Depth=1
	s_or_b64 exec, exec, s[12:13]
	v_lshl_add_u64 v[8:9], v[12:13], 0, v[34:35]
	s_branch .LBB1_221
.LBB1_218:                              ;   in Loop: Header=BB1_221 Depth=2
	s_or_b64 exec, exec, s[12:13]
	v_readfirstlane_b32 s12, v5
	s_cmp_eq_u32 s12, 0
	s_cbranch_scc1 .LBB1_220
; %bb.219:                              ;   in Loop: Header=BB1_221 Depth=2
	s_sleep 1
	s_cbranch_execnz .LBB1_221
	s_branch .LBB1_223
.LBB1_220:                              ;   in Loop: Header=BB1_145 Depth=1
	s_branch .LBB1_223
.LBB1_221:                              ;   Parent Loop BB1_145 Depth=1
                                        ; =>  This Inner Loop Header: Depth=2
	v_mov_b32_e32 v5, 1
	s_and_saveexec_b64 s[12:13], s[0:1]
	s_cbranch_execz .LBB1_218
; %bb.222:                              ;   in Loop: Header=BB1_221 Depth=2
	global_load_dword v5, v[48:49], off offset:20 sc0 sc1
	s_waitcnt vmcnt(0)
	buffer_inv sc0 sc1
	v_and_b32_e32 v5, 1, v5
	s_branch .LBB1_218
.LBB1_223:                              ;   in Loop: Header=BB1_145 Depth=1
	global_load_dwordx2 v[8:9], v[8:9], off
	s_and_saveexec_b64 s[12:13], s[0:1]
	s_cbranch_execz .LBB1_144
; %bb.224:                              ;   in Loop: Header=BB1_145 Depth=1
	global_load_dwordx2 v[10:11], v35, s[2:3] offset:40
	global_load_dwordx2 v[20:21], v35, s[2:3] offset:24 sc0 sc1
	global_load_dwordx2 v[12:13], v35, s[2:3]
	s_waitcnt vmcnt(2)
	v_readfirstlane_b32 s14, v10
	v_readfirstlane_b32 s15, v11
	s_add_u32 s16, s14, 1
	s_addc_u32 s17, s15, 0
	s_add_u32 s0, s16, s10
	s_addc_u32 s1, s17, s11
	s_cmp_eq_u64 s[0:1], 0
	s_cselect_b32 s1, s17, s1
	s_cselect_b32 s0, s16, s0
	s_and_b64 s[10:11], s[0:1], s[14:15]
	s_mul_i32 s11, s11, 24
	s_mul_hi_u32 s14, s10, 24
	s_mul_i32 s10, s10, 24
	s_add_i32 s11, s14, s11
	s_waitcnt vmcnt(0)
	v_lshl_add_u64 v[16:17], v[12:13], 0, s[10:11]
	v_mov_b32_e32 v18, s0
	global_store_dwordx2 v[16:17], v[20:21], off
	v_mov_b32_e32 v19, s1
	buffer_wbl2 sc0 sc1
	s_waitcnt vmcnt(0)
	global_atomic_cmpswap_x2 v[12:13], v35, v[18:21], s[2:3] offset:24 sc0 sc1
	s_waitcnt vmcnt(0)
	v_cmp_ne_u64_e32 vcc, v[12:13], v[20:21]
	s_and_b64 exec, exec, vcc
	s_cbranch_execz .LBB1_144
; %bb.225:                              ;   in Loop: Header=BB1_145 Depth=1
	s_mov_b64 s[10:11], 0
.LBB1_226:                              ;   Parent Loop BB1_145 Depth=1
                                        ; =>  This Inner Loop Header: Depth=2
	s_sleep 1
	global_store_dwordx2 v[16:17], v[12:13], off
	v_mov_b32_e32 v10, s0
	v_mov_b32_e32 v11, s1
	buffer_wbl2 sc0 sc1
	s_waitcnt vmcnt(0)
	global_atomic_cmpswap_x2 v[10:11], v35, v[10:13], s[2:3] offset:24 sc0 sc1
	s_waitcnt vmcnt(0)
	v_cmp_eq_u64_e32 vcc, v[10:11], v[12:13]
	s_or_b64 s[10:11], vcc, s[10:11]
	v_mov_b64_e32 v[12:13], v[10:11]
	s_andn2_b64 exec, exec, s[10:11]
	s_cbranch_execnz .LBB1_226
	s_branch .LBB1_144
.LBB1_227:
	s_or_b64 exec, exec, s[4:5]
.LBB1_228:
	s_andn2_saveexec_b64 s[4:5], s[6:7]
	s_cbranch_execz .LBB1_255
; %bb.229:
	v_readfirstlane_b32 s0, v52
	v_mov_b64_e32 v[10:11], 0
	s_nop 0
	v_cmp_eq_u32_e64 s[0:1], s0, v52
	s_and_saveexec_b64 s[6:7], s[0:1]
	s_cbranch_execz .LBB1_235
; %bb.230:
	v_mov_b32_e32 v0, 0
	global_load_dwordx2 v[12:13], v0, s[2:3] offset:24 sc0 sc1
	s_waitcnt vmcnt(0)
	buffer_inv sc0 sc1
	global_load_dwordx2 v[2:3], v0, s[2:3] offset:40
	global_load_dwordx2 v[10:11], v0, s[2:3]
	s_waitcnt vmcnt(1)
	v_and_b32_e32 v1, v2, v12
	v_and_b32_e32 v2, v3, v13
	v_mul_lo_u32 v2, v2, 24
	v_mul_hi_u32 v3, v1, 24
	v_add_u32_e32 v3, v3, v2
	v_mul_lo_u32 v2, v1, 24
	s_waitcnt vmcnt(0)
	v_lshl_add_u64 v[2:3], v[10:11], 0, v[2:3]
	global_load_dwordx2 v[10:11], v[2:3], off sc0 sc1
	s_waitcnt vmcnt(0)
	global_atomic_cmpswap_x2 v[10:11], v0, v[10:13], s[2:3] offset:24 sc0 sc1
	s_waitcnt vmcnt(0)
	buffer_inv sc0 sc1
	v_cmp_ne_u64_e32 vcc, v[10:11], v[12:13]
	s_and_saveexec_b64 s[10:11], vcc
	s_cbranch_execz .LBB1_234
; %bb.231:
	s_mov_b64 s[12:13], 0
.LBB1_232:                              ; =>This Inner Loop Header: Depth=1
	s_sleep 1
	global_load_dwordx2 v[2:3], v0, s[2:3] offset:40
	global_load_dwordx2 v[14:15], v0, s[2:3]
	v_mov_b64_e32 v[12:13], v[10:11]
	s_waitcnt vmcnt(1)
	v_and_b32_e32 v2, v2, v12
	v_and_b32_e32 v1, v3, v13
	s_waitcnt vmcnt(0)
	v_mad_u64_u32 v[2:3], s[14:15], v2, 24, v[14:15]
	v_mov_b32_e32 v10, v3
	v_mad_u64_u32 v[10:11], s[14:15], v1, 24, v[10:11]
	v_mov_b32_e32 v3, v10
	global_load_dwordx2 v[10:11], v[2:3], off sc0 sc1
	s_waitcnt vmcnt(0)
	global_atomic_cmpswap_x2 v[10:11], v0, v[10:13], s[2:3] offset:24 sc0 sc1
	s_waitcnt vmcnt(0)
	buffer_inv sc0 sc1
	v_cmp_eq_u64_e32 vcc, v[10:11], v[12:13]
	s_or_b64 s[12:13], vcc, s[12:13]
	s_andn2_b64 exec, exec, s[12:13]
	s_cbranch_execnz .LBB1_232
; %bb.233:
	s_or_b64 exec, exec, s[12:13]
.LBB1_234:
	s_or_b64 exec, exec, s[10:11]
.LBB1_235:
	s_or_b64 exec, exec, s[6:7]
	v_mov_b32_e32 v35, 0
	global_load_dwordx2 v[12:13], v35, s[2:3] offset:40
	global_load_dwordx4 v[0:3], v35, s[2:3]
	v_readfirstlane_b32 s7, v11
	v_readfirstlane_b32 s6, v10
	s_mov_b64 s[10:11], exec
	s_waitcnt vmcnt(1)
	v_readfirstlane_b32 s12, v12
	v_readfirstlane_b32 s13, v13
	s_and_b64 s[12:13], s[12:13], s[6:7]
	s_mul_i32 s14, s13, 24
	s_mul_hi_u32 s15, s12, 24
	s_add_i32 s15, s15, s14
	s_mul_i32 s14, s12, 24
	s_waitcnt vmcnt(0)
	v_lshl_add_u64 v[12:13], v[0:1], 0, s[14:15]
	s_and_saveexec_b64 s[14:15], s[0:1]
	s_cbranch_execz .LBB1_237
; %bb.236:
	v_mov_b64_e32 v[14:15], s[10:11]
	v_mov_b32_e32 v16, 2
	v_mov_b32_e32 v17, 1
	global_store_dwordx4 v[12:13], v[14:17], off offset:8
.LBB1_237:
	s_or_b64 exec, exec, s[14:15]
	s_lshl_b64 s[10:11], s[12:13], 12
	v_lshl_add_u64 v[14:15], v[2:3], 0, s[10:11]
	s_movk_i32 s10, 0xff1f
	s_mov_b32 s12, 0
	v_and_or_b32 v8, v8, s10, 32
	v_mov_b32_e32 v10, v35
	v_mov_b32_e32 v11, v35
	v_readfirstlane_b32 s10, v14
	v_readfirstlane_b32 s11, v15
	s_mov_b32 s13, s12
	s_mov_b32 s14, s12
	;; [unrolled: 1-line block ×3, first 2 shown]
	s_nop 1
	global_store_dwordx4 v34, v[8:11], s[10:11]
	s_nop 1
	v_mov_b64_e32 v[8:9], s[12:13]
	v_mov_b64_e32 v[10:11], s[14:15]
	global_store_dwordx4 v34, v[8:11], s[10:11] offset:16
	global_store_dwordx4 v34, v[8:11], s[10:11] offset:32
	global_store_dwordx4 v34, v[8:11], s[10:11] offset:48
	s_and_saveexec_b64 s[10:11], s[0:1]
	s_cbranch_execz .LBB1_245
; %bb.238:
	v_mov_b32_e32 v5, 0
	global_load_dwordx2 v[18:19], v5, s[2:3] offset:32 sc0 sc1
	global_load_dwordx2 v[2:3], v5, s[2:3] offset:40
	v_mov_b32_e32 v16, s6
	v_mov_b32_e32 v17, s7
	s_waitcnt vmcnt(0)
	v_readfirstlane_b32 s12, v2
	v_readfirstlane_b32 s13, v3
	s_and_b64 s[12:13], s[12:13], s[6:7]
	s_mul_i32 s13, s13, 24
	s_mul_hi_u32 s14, s12, 24
	s_mul_i32 s12, s12, 24
	s_add_i32 s13, s14, s13
	v_lshl_add_u64 v[8:9], v[0:1], 0, s[12:13]
	global_store_dwordx2 v[8:9], v[18:19], off
	buffer_wbl2 sc0 sc1
	s_waitcnt vmcnt(0)
	global_atomic_cmpswap_x2 v[2:3], v5, v[16:19], s[2:3] offset:32 sc0 sc1
	s_waitcnt vmcnt(0)
	v_cmp_ne_u64_e32 vcc, v[2:3], v[18:19]
	s_and_saveexec_b64 s[12:13], vcc
	s_cbranch_execz .LBB1_241
; %bb.239:
	s_mov_b64 s[14:15], 0
.LBB1_240:                              ; =>This Inner Loop Header: Depth=1
	s_sleep 1
	global_store_dwordx2 v[8:9], v[2:3], off
	v_mov_b32_e32 v0, s6
	v_mov_b32_e32 v1, s7
	buffer_wbl2 sc0 sc1
	s_waitcnt vmcnt(0)
	global_atomic_cmpswap_x2 v[0:1], v5, v[0:3], s[2:3] offset:32 sc0 sc1
	s_waitcnt vmcnt(0)
	v_cmp_eq_u64_e32 vcc, v[0:1], v[2:3]
	s_or_b64 s[14:15], vcc, s[14:15]
	v_mov_b64_e32 v[2:3], v[0:1]
	s_andn2_b64 exec, exec, s[14:15]
	s_cbranch_execnz .LBB1_240
.LBB1_241:
	s_or_b64 exec, exec, s[12:13]
	v_mov_b32_e32 v3, 0
	global_load_dwordx2 v[0:1], v3, s[2:3] offset:16
	s_mov_b64 s[12:13], exec
	v_mbcnt_lo_u32_b32 v2, s12, 0
	v_mbcnt_hi_u32_b32 v2, s13, v2
	v_cmp_eq_u32_e32 vcc, 0, v2
	s_and_saveexec_b64 s[14:15], vcc
	s_cbranch_execz .LBB1_243
; %bb.242:
	s_bcnt1_i32_b64 s12, s[12:13]
	v_mov_b32_e32 v2, s12
	buffer_wbl2 sc0 sc1
	s_waitcnt vmcnt(0)
	global_atomic_add_x2 v[0:1], v[2:3], off offset:8 sc1
.LBB1_243:
	s_or_b64 exec, exec, s[14:15]
	s_waitcnt vmcnt(0)
	global_load_dwordx2 v[2:3], v[0:1], off offset:16
	s_waitcnt vmcnt(0)
	v_cmp_eq_u64_e32 vcc, 0, v[2:3]
	s_cbranch_vccnz .LBB1_245
; %bb.244:
	global_load_dword v0, v[0:1], off offset:24
	v_mov_b32_e32 v1, 0
	s_waitcnt vmcnt(0)
	v_readfirstlane_b32 s12, v0
	s_and_b32 m0, s12, 0xffffff
	buffer_wbl2 sc0 sc1
	global_store_dwordx2 v[2:3], v[0:1], off sc0 sc1
	s_sendmsg sendmsg(MSG_INTERRUPT)
.LBB1_245:
	s_or_b64 exec, exec, s[10:11]
	v_lshl_add_u64 v[0:1], v[14:15], 0, v[34:35]
	s_branch .LBB1_249
.LBB1_246:                              ;   in Loop: Header=BB1_249 Depth=1
	s_or_b64 exec, exec, s[10:11]
	v_readfirstlane_b32 s10, v2
	s_cmp_eq_u32 s10, 0
	s_cbranch_scc1 .LBB1_248
; %bb.247:                              ;   in Loop: Header=BB1_249 Depth=1
	s_sleep 1
	s_cbranch_execnz .LBB1_249
	s_branch .LBB1_251
.LBB1_248:
	s_branch .LBB1_251
.LBB1_249:                              ; =>This Inner Loop Header: Depth=1
	v_mov_b32_e32 v2, 1
	s_and_saveexec_b64 s[10:11], s[0:1]
	s_cbranch_execz .LBB1_246
; %bb.250:                              ;   in Loop: Header=BB1_249 Depth=1
	global_load_dword v2, v[12:13], off offset:20 sc0 sc1
	s_waitcnt vmcnt(0)
	buffer_inv sc0 sc1
	v_and_b32_e32 v2, 1, v2
	s_branch .LBB1_246
.LBB1_251:
	global_load_dwordx2 v[8:9], v[0:1], off
	s_and_saveexec_b64 s[10:11], s[0:1]
	s_cbranch_execz .LBB1_254
; %bb.252:
	v_mov_b32_e32 v5, 0
	global_load_dwordx2 v[0:1], v5, s[2:3] offset:40
	global_load_dwordx2 v[14:15], v5, s[2:3] offset:24 sc0 sc1
	global_load_dwordx2 v[2:3], v5, s[2:3]
	s_waitcnt vmcnt(2)
	v_readfirstlane_b32 s12, v0
	v_readfirstlane_b32 s13, v1
	s_add_u32 s14, s12, 1
	s_addc_u32 s15, s13, 0
	s_add_u32 s0, s14, s6
	s_addc_u32 s1, s15, s7
	s_cmp_eq_u64 s[0:1], 0
	s_cselect_b32 s1, s15, s1
	s_cselect_b32 s0, s14, s0
	s_and_b64 s[6:7], s[0:1], s[12:13]
	s_mul_i32 s7, s7, 24
	s_mul_hi_u32 s12, s6, 24
	s_mul_i32 s6, s6, 24
	s_add_i32 s7, s12, s7
	s_waitcnt vmcnt(0)
	v_lshl_add_u64 v[10:11], v[2:3], 0, s[6:7]
	v_mov_b32_e32 v12, s0
	global_store_dwordx2 v[10:11], v[14:15], off
	v_mov_b32_e32 v13, s1
	buffer_wbl2 sc0 sc1
	s_waitcnt vmcnt(0)
	global_atomic_cmpswap_x2 v[2:3], v5, v[12:15], s[2:3] offset:24 sc0 sc1
	s_mov_b64 s[6:7], 0
	s_waitcnt vmcnt(0)
	v_cmp_ne_u64_e32 vcc, v[2:3], v[14:15]
	s_and_b64 exec, exec, vcc
	s_cbranch_execz .LBB1_254
.LBB1_253:                              ; =>This Inner Loop Header: Depth=1
	s_sleep 1
	global_store_dwordx2 v[10:11], v[2:3], off
	v_mov_b32_e32 v0, s0
	v_mov_b32_e32 v1, s1
	buffer_wbl2 sc0 sc1
	s_waitcnt vmcnt(0)
	global_atomic_cmpswap_x2 v[0:1], v5, v[0:3], s[2:3] offset:24 sc0 sc1
	s_waitcnt vmcnt(0)
	v_cmp_eq_u64_e32 vcc, v[0:1], v[2:3]
	s_or_b64 s[6:7], vcc, s[6:7]
	v_mov_b64_e32 v[2:3], v[0:1]
	s_andn2_b64 exec, exec, s[6:7]
	s_cbranch_execnz .LBB1_253
.LBB1_254:
	s_or_b64 exec, exec, s[10:11]
.LBB1_255:
	s_or_b64 exec, exec, s[4:5]
	v_readfirstlane_b32 s0, v52
	v_mov_b64_e32 v[10:11], 0
	s_nop 0
	v_cmp_eq_u32_e64 s[0:1], s0, v52
	s_and_saveexec_b64 s[4:5], s[0:1]
	s_cbranch_execz .LBB1_261
; %bb.256:
	v_mov_b32_e32 v0, 0
	global_load_dwordx2 v[12:13], v0, s[2:3] offset:24 sc0 sc1
	s_waitcnt vmcnt(0)
	buffer_inv sc0 sc1
	global_load_dwordx2 v[2:3], v0, s[2:3] offset:40
	global_load_dwordx2 v[10:11], v0, s[2:3]
	s_waitcnt vmcnt(1)
	v_and_b32_e32 v1, v2, v12
	v_and_b32_e32 v2, v3, v13
	v_mul_lo_u32 v2, v2, 24
	v_mul_hi_u32 v3, v1, 24
	v_add_u32_e32 v3, v3, v2
	v_mul_lo_u32 v2, v1, 24
	s_waitcnt vmcnt(0)
	v_lshl_add_u64 v[2:3], v[10:11], 0, v[2:3]
	global_load_dwordx2 v[10:11], v[2:3], off sc0 sc1
	s_waitcnt vmcnt(0)
	global_atomic_cmpswap_x2 v[10:11], v0, v[10:13], s[2:3] offset:24 sc0 sc1
	s_waitcnt vmcnt(0)
	buffer_inv sc0 sc1
	v_cmp_ne_u64_e32 vcc, v[10:11], v[12:13]
	s_and_saveexec_b64 s[6:7], vcc
	s_cbranch_execz .LBB1_260
; %bb.257:
	s_mov_b64 s[10:11], 0
.LBB1_258:                              ; =>This Inner Loop Header: Depth=1
	s_sleep 1
	global_load_dwordx2 v[2:3], v0, s[2:3] offset:40
	global_load_dwordx2 v[14:15], v0, s[2:3]
	v_mov_b64_e32 v[12:13], v[10:11]
	s_waitcnt vmcnt(1)
	v_and_b32_e32 v2, v2, v12
	v_and_b32_e32 v1, v3, v13
	s_waitcnt vmcnt(0)
	v_mad_u64_u32 v[2:3], s[12:13], v2, 24, v[14:15]
	v_mov_b32_e32 v10, v3
	v_mad_u64_u32 v[10:11], s[12:13], v1, 24, v[10:11]
	v_mov_b32_e32 v3, v10
	global_load_dwordx2 v[10:11], v[2:3], off sc0 sc1
	s_waitcnt vmcnt(0)
	global_atomic_cmpswap_x2 v[10:11], v0, v[10:13], s[2:3] offset:24 sc0 sc1
	s_waitcnt vmcnt(0)
	buffer_inv sc0 sc1
	v_cmp_eq_u64_e32 vcc, v[10:11], v[12:13]
	s_or_b64 s[10:11], vcc, s[10:11]
	s_andn2_b64 exec, exec, s[10:11]
	s_cbranch_execnz .LBB1_258
; %bb.259:
	s_or_b64 exec, exec, s[10:11]
.LBB1_260:
	s_or_b64 exec, exec, s[6:7]
.LBB1_261:
	s_or_b64 exec, exec, s[4:5]
	v_mov_b32_e32 v35, 0
	global_load_dwordx2 v[12:13], v35, s[2:3] offset:40
	global_load_dwordx4 v[0:3], v35, s[2:3]
	v_readfirstlane_b32 s5, v11
	v_readfirstlane_b32 s4, v10
	s_mov_b64 s[6:7], exec
	s_waitcnt vmcnt(1)
	v_readfirstlane_b32 s10, v12
	v_readfirstlane_b32 s11, v13
	s_and_b64 s[10:11], s[10:11], s[4:5]
	s_mul_i32 s12, s11, 24
	s_mul_hi_u32 s13, s10, 24
	s_add_i32 s13, s13, s12
	s_mul_i32 s12, s10, 24
	s_waitcnt vmcnt(0)
	v_lshl_add_u64 v[12:13], v[0:1], 0, s[12:13]
	s_and_saveexec_b64 s[12:13], s[0:1]
	s_cbranch_execz .LBB1_263
; %bb.262:
	v_mov_b64_e32 v[14:15], s[6:7]
	v_mov_b32_e32 v16, 2
	v_mov_b32_e32 v17, 1
	global_store_dwordx4 v[12:13], v[14:17], off offset:8
.LBB1_263:
	s_or_b64 exec, exec, s[12:13]
	s_mov_b32 s12, 0
	s_lshl_b64 s[6:7], s[10:11], 12
	s_mov_b32 s13, s12
	v_lshl_add_u64 v[14:15], v[2:3], 0, s[6:7]
	s_movk_i32 s6, 0xff1f
	v_mov_b32_e32 v10, v4
	s_mov_b32 s14, s12
	s_mov_b32 s15, s12
	v_mov_b64_e32 v[2:3], s[12:13]
	v_and_or_b32 v8, v8, s6, 32
	v_mov_b32_e32 v11, v35
	v_readfirstlane_b32 s6, v14
	v_readfirstlane_b32 s7, v15
	v_mov_b64_e32 v[4:5], s[14:15]
	s_nop 3
	global_store_dwordx4 v34, v[8:11], s[6:7]
	global_store_dwordx4 v34, v[2:5], s[6:7] offset:16
	global_store_dwordx4 v34, v[2:5], s[6:7] offset:32
	;; [unrolled: 1-line block ×3, first 2 shown]
	s_and_saveexec_b64 s[6:7], s[0:1]
	s_cbranch_execz .LBB1_271
; %bb.264:
	v_mov_b32_e32 v8, 0
	global_load_dwordx2 v[18:19], v8, s[2:3] offset:32 sc0 sc1
	global_load_dwordx2 v[2:3], v8, s[2:3] offset:40
	v_mov_b32_e32 v16, s4
	v_mov_b32_e32 v17, s5
	s_waitcnt vmcnt(0)
	v_readfirstlane_b32 s10, v2
	v_readfirstlane_b32 s11, v3
	s_and_b64 s[10:11], s[10:11], s[4:5]
	s_mul_i32 s11, s11, 24
	s_mul_hi_u32 s12, s10, 24
	s_mul_i32 s10, s10, 24
	s_add_i32 s11, s12, s11
	v_lshl_add_u64 v[4:5], v[0:1], 0, s[10:11]
	global_store_dwordx2 v[4:5], v[18:19], off
	buffer_wbl2 sc0 sc1
	s_waitcnt vmcnt(0)
	global_atomic_cmpswap_x2 v[2:3], v8, v[16:19], s[2:3] offset:32 sc0 sc1
	s_waitcnt vmcnt(0)
	v_cmp_ne_u64_e32 vcc, v[2:3], v[18:19]
	s_and_saveexec_b64 s[10:11], vcc
	s_cbranch_execz .LBB1_267
; %bb.265:
	s_mov_b64 s[12:13], 0
.LBB1_266:                              ; =>This Inner Loop Header: Depth=1
	s_sleep 1
	global_store_dwordx2 v[4:5], v[2:3], off
	v_mov_b32_e32 v0, s4
	v_mov_b32_e32 v1, s5
	buffer_wbl2 sc0 sc1
	s_waitcnt vmcnt(0)
	global_atomic_cmpswap_x2 v[0:1], v8, v[0:3], s[2:3] offset:32 sc0 sc1
	s_waitcnt vmcnt(0)
	v_cmp_eq_u64_e32 vcc, v[0:1], v[2:3]
	s_or_b64 s[12:13], vcc, s[12:13]
	v_mov_b64_e32 v[2:3], v[0:1]
	s_andn2_b64 exec, exec, s[12:13]
	s_cbranch_execnz .LBB1_266
.LBB1_267:
	s_or_b64 exec, exec, s[10:11]
	v_mov_b32_e32 v3, 0
	global_load_dwordx2 v[0:1], v3, s[2:3] offset:16
	s_mov_b64 s[10:11], exec
	v_mbcnt_lo_u32_b32 v2, s10, 0
	v_mbcnt_hi_u32_b32 v2, s11, v2
	v_cmp_eq_u32_e32 vcc, 0, v2
	s_and_saveexec_b64 s[12:13], vcc
	s_cbranch_execz .LBB1_269
; %bb.268:
	s_bcnt1_i32_b64 s10, s[10:11]
	v_mov_b32_e32 v2, s10
	buffer_wbl2 sc0 sc1
	s_waitcnt vmcnt(0)
	global_atomic_add_x2 v[0:1], v[2:3], off offset:8 sc1
.LBB1_269:
	s_or_b64 exec, exec, s[12:13]
	s_waitcnt vmcnt(0)
	global_load_dwordx2 v[2:3], v[0:1], off offset:16
	s_waitcnt vmcnt(0)
	v_cmp_eq_u64_e32 vcc, 0, v[2:3]
	s_cbranch_vccnz .LBB1_271
; %bb.270:
	global_load_dword v0, v[0:1], off offset:24
	v_mov_b32_e32 v1, 0
	s_waitcnt vmcnt(0)
	v_readfirstlane_b32 s10, v0
	s_and_b32 m0, s10, 0xffffff
	buffer_wbl2 sc0 sc1
	global_store_dwordx2 v[2:3], v[0:1], off sc0 sc1
	s_sendmsg sendmsg(MSG_INTERRUPT)
.LBB1_271:
	s_or_b64 exec, exec, s[6:7]
	v_lshl_add_u64 v[0:1], v[14:15], 0, v[34:35]
	s_branch .LBB1_275
.LBB1_272:                              ;   in Loop: Header=BB1_275 Depth=1
	s_or_b64 exec, exec, s[6:7]
	v_readfirstlane_b32 s6, v2
	s_cmp_eq_u32 s6, 0
	s_cbranch_scc1 .LBB1_274
; %bb.273:                              ;   in Loop: Header=BB1_275 Depth=1
	s_sleep 1
	s_cbranch_execnz .LBB1_275
	s_branch .LBB1_277
.LBB1_274:
	s_branch .LBB1_277
.LBB1_275:                              ; =>This Inner Loop Header: Depth=1
	v_mov_b32_e32 v2, 1
	s_and_saveexec_b64 s[6:7], s[0:1]
	s_cbranch_execz .LBB1_272
; %bb.276:                              ;   in Loop: Header=BB1_275 Depth=1
	global_load_dword v2, v[12:13], off offset:20 sc0 sc1
	s_waitcnt vmcnt(0)
	buffer_inv sc0 sc1
	v_and_b32_e32 v2, 1, v2
	s_branch .LBB1_272
.LBB1_277:
	global_load_dwordx2 v[0:1], v[0:1], off
	s_and_saveexec_b64 s[6:7], s[0:1]
	s_cbranch_execz .LBB1_280
; %bb.278:
	v_mov_b32_e32 v10, 0
	global_load_dwordx2 v[2:3], v10, s[2:3] offset:40
	global_load_dwordx2 v[14:15], v10, s[2:3] offset:24 sc0 sc1
	global_load_dwordx2 v[4:5], v10, s[2:3]
	s_waitcnt vmcnt(2)
	v_readfirstlane_b32 s10, v2
	v_readfirstlane_b32 s11, v3
	s_add_u32 s12, s10, 1
	s_addc_u32 s13, s11, 0
	s_add_u32 s0, s12, s4
	s_addc_u32 s1, s13, s5
	s_cmp_eq_u64 s[0:1], 0
	s_cselect_b32 s1, s13, s1
	s_cselect_b32 s0, s12, s0
	s_and_b64 s[4:5], s[0:1], s[10:11]
	s_mul_i32 s5, s5, 24
	s_mul_hi_u32 s10, s4, 24
	s_mul_i32 s4, s4, 24
	s_add_i32 s5, s10, s5
	s_waitcnt vmcnt(0)
	v_lshl_add_u64 v[8:9], v[4:5], 0, s[4:5]
	v_mov_b32_e32 v12, s0
	global_store_dwordx2 v[8:9], v[14:15], off
	v_mov_b32_e32 v13, s1
	buffer_wbl2 sc0 sc1
	s_waitcnt vmcnt(0)
	global_atomic_cmpswap_x2 v[4:5], v10, v[12:15], s[2:3] offset:24 sc0 sc1
	s_mov_b64 s[4:5], 0
	s_waitcnt vmcnt(0)
	v_cmp_ne_u64_e32 vcc, v[4:5], v[14:15]
	s_and_b64 exec, exec, vcc
	s_cbranch_execz .LBB1_280
.LBB1_279:                              ; =>This Inner Loop Header: Depth=1
	s_sleep 1
	global_store_dwordx2 v[8:9], v[4:5], off
	v_mov_b32_e32 v2, s0
	v_mov_b32_e32 v3, s1
	buffer_wbl2 sc0 sc1
	s_waitcnt vmcnt(0)
	global_atomic_cmpswap_x2 v[2:3], v10, v[2:5], s[2:3] offset:24 sc0 sc1
	s_waitcnt vmcnt(0)
	v_cmp_eq_u64_e32 vcc, v[2:3], v[4:5]
	s_or_b64 s[4:5], vcc, s[4:5]
	v_mov_b64_e32 v[4:5], v[2:3]
	s_andn2_b64 exec, exec, s[4:5]
	s_cbranch_execnz .LBB1_279
.LBB1_280:
	s_or_b64 exec, exec, s[6:7]
	s_mov_b64 s[0:1], 0
	v_mov_b64_e32 v[2:3], v[36:37]
.LBB1_281:                              ; =>This Inner Loop Header: Depth=1
	global_load_ubyte v4, v[2:3], off
	v_lshl_add_u64 v[2:3], v[2:3], 0, 1
	s_waitcnt vmcnt(0)
	v_cmp_eq_u16_e32 vcc, 0, v4
	s_or_b64 s[0:1], vcc, s[0:1]
	s_andn2_b64 exec, exec, s[0:1]
	s_cbranch_execnz .LBB1_281
; %bb.282:
	s_or_b64 exec, exec, s[0:1]
	s_mov_b64 s[4:5], 0
	v_cmp_ne_u64_e32 vcc, 0, v[36:37]
	s_and_saveexec_b64 s[0:1], vcc
	s_xor_b64 s[6:7], exec, s[0:1]
	s_cbranch_execz .LBB1_368
; %bb.283:
	v_sub_u32_e32 v28, v2, v36
	v_ashrrev_i32_e32 v29, 31, v28
	v_and_b32_e32 v30, 2, v0
	v_mov_b32_e32 v35, 0
	v_and_b32_e32 v0, -3, v0
	s_mov_b32 s18, 0
	s_movk_i32 s19, 0x1e0
	v_mov_b32_e32 v10, 2
	v_mov_b32_e32 v11, 1
	s_branch .LBB1_285
.LBB1_284:                              ;   in Loop: Header=BB1_285 Depth=1
	s_or_b64 exec, exec, s[12:13]
	v_sub_co_u32_e32 v28, vcc, v28, v32
	v_lshl_add_u64 v[36:37], v[36:37], 0, v[32:33]
	s_nop 0
	v_subb_co_u32_e32 v29, vcc, v29, v33, vcc
	v_cmp_eq_u64_e32 vcc, 0, v[28:29]
	s_or_b64 s[4:5], vcc, s[4:5]
	s_andn2_b64 exec, exec, s[4:5]
	s_cbranch_execz .LBB1_367
.LBB1_285:                              ; =>This Loop Header: Depth=1
                                        ;     Child Loop BB1_288 Depth 2
                                        ;     Child Loop BB1_296 Depth 2
                                        ;     Child Loop BB1_304 Depth 2
                                        ;     Child Loop BB1_312 Depth 2
                                        ;     Child Loop BB1_320 Depth 2
                                        ;     Child Loop BB1_328 Depth 2
                                        ;     Child Loop BB1_336 Depth 2
                                        ;     Child Loop BB1_344 Depth 2
                                        ;     Child Loop BB1_352 Depth 2
                                        ;     Child Loop BB1_361 Depth 2
                                        ;     Child Loop BB1_366 Depth 2
	v_cmp_gt_u64_e32 vcc, 56, v[28:29]
	v_lshl_add_u64 v[8:9], v[36:37], 0, 8
	s_nop 0
	v_cndmask_b32_e32 v33, 0, v29, vcc
	v_cndmask_b32_e32 v32, 56, v28, vcc
	v_cmp_gt_u64_e32 vcc, 8, v[28:29]
	s_and_saveexec_b64 s[0:1], vcc
	s_xor_b64 s[0:1], exec, s[0:1]
	s_cbranch_execz .LBB1_291
; %bb.286:                              ;   in Loop: Header=BB1_285 Depth=1
	v_mov_b64_e32 v[2:3], 0
	v_cmp_ne_u64_e32 vcc, 0, v[28:29]
	s_and_saveexec_b64 s[10:11], vcc
	s_cbranch_execz .LBB1_290
; %bb.287:                              ;   in Loop: Header=BB1_285 Depth=1
	v_lshlrev_b64 v[4:5], 3, v[32:33]
	s_mov_b64 s[12:13], 0
	v_mov_b64_e32 v[2:3], 0
	v_mov_b64_e32 v[8:9], v[36:37]
	s_mov_b64 s[14:15], 0
.LBB1_288:                              ;   Parent Loop BB1_285 Depth=1
                                        ; =>  This Inner Loop Header: Depth=2
	global_load_ubyte v5, v[8:9], off
	v_mov_b32_e32 v13, s18
	v_lshl_add_u64 v[8:9], v[8:9], 0, 1
	s_waitcnt vmcnt(0)
	v_and_b32_e32 v12, 0xffff, v5
	v_lshlrev_b64 v[12:13], s14, v[12:13]
	s_add_u32 s14, s14, 8
	s_addc_u32 s15, s15, 0
	v_cmp_eq_u32_e32 vcc, s14, v4
	v_or_b32_e32 v3, v13, v3
	s_or_b64 s[12:13], vcc, s[12:13]
	v_or_b32_e32 v2, v12, v2
	s_andn2_b64 exec, exec, s[12:13]
	s_cbranch_execnz .LBB1_288
; %bb.289:                              ;   in Loop: Header=BB1_285 Depth=1
	s_or_b64 exec, exec, s[12:13]
.LBB1_290:                              ;   in Loop: Header=BB1_285 Depth=1
	s_or_b64 exec, exec, s[10:11]
	v_mov_b64_e32 v[8:9], v[36:37]
.LBB1_291:                              ;   in Loop: Header=BB1_285 Depth=1
	s_or_saveexec_b64 s[0:1], s[0:1]
	v_mov_b32_e32 v14, 0
	s_xor_b64 exec, exec, s[0:1]
	s_cbranch_execz .LBB1_293
; %bb.292:                              ;   in Loop: Header=BB1_285 Depth=1
	global_load_dwordx2 v[2:3], v[36:37], off
	v_add_u32_e32 v14, -8, v32
.LBB1_293:                              ;   in Loop: Header=BB1_285 Depth=1
	s_or_b64 exec, exec, s[0:1]
	v_cmp_gt_u32_e32 vcc, 8, v14
	v_lshl_add_u64 v[4:5], v[8:9], 0, 8
                                        ; implicit-def: $vgpr12_vgpr13
	s_and_saveexec_b64 s[0:1], vcc
	s_xor_b64 s[0:1], exec, s[0:1]
	s_cbranch_execz .LBB1_299
; %bb.294:                              ;   in Loop: Header=BB1_285 Depth=1
	v_cmp_ne_u32_e32 vcc, 0, v14
	v_mov_b64_e32 v[12:13], 0
	s_and_saveexec_b64 s[10:11], vcc
	s_cbranch_execz .LBB1_298
; %bb.295:                              ;   in Loop: Header=BB1_285 Depth=1
	s_mov_b64 s[12:13], 0
	v_mov_b64_e32 v[12:13], 0
	s_mov_b64 s[14:15], 0
	s_mov_b64 s[16:17], 0
.LBB1_296:                              ;   Parent Loop BB1_285 Depth=1
                                        ; =>  This Inner Loop Header: Depth=2
	v_lshl_add_u64 v[4:5], v[8:9], 0, s[16:17]
	global_load_ubyte v4, v[4:5], off
	s_add_u32 s16, s16, 1
	v_mov_b32_e32 v5, s18
	s_addc_u32 s17, s17, 0
	v_cmp_eq_u32_e32 vcc, s16, v14
	s_waitcnt vmcnt(0)
	v_and_b32_e32 v4, 0xffff, v4
	v_lshlrev_b64 v[4:5], s14, v[4:5]
	s_add_u32 s14, s14, 8
	s_addc_u32 s15, s15, 0
	v_or_b32_e32 v13, v5, v13
	s_or_b64 s[12:13], vcc, s[12:13]
	v_or_b32_e32 v12, v4, v12
	s_andn2_b64 exec, exec, s[12:13]
	s_cbranch_execnz .LBB1_296
; %bb.297:                              ;   in Loop: Header=BB1_285 Depth=1
	s_or_b64 exec, exec, s[12:13]
.LBB1_298:                              ;   in Loop: Header=BB1_285 Depth=1
	s_or_b64 exec, exec, s[10:11]
	v_mov_b64_e32 v[4:5], v[8:9]
                                        ; implicit-def: $vgpr14
.LBB1_299:                              ;   in Loop: Header=BB1_285 Depth=1
	s_or_saveexec_b64 s[0:1], s[0:1]
	v_mov_b32_e32 v16, 0
	s_xor_b64 exec, exec, s[0:1]
	s_cbranch_execz .LBB1_301
; %bb.300:                              ;   in Loop: Header=BB1_285 Depth=1
	global_load_dwordx2 v[12:13], v[8:9], off
	v_add_u32_e32 v16, -8, v14
.LBB1_301:                              ;   in Loop: Header=BB1_285 Depth=1
	s_or_b64 exec, exec, s[0:1]
	v_cmp_gt_u32_e32 vcc, 8, v16
	v_lshl_add_u64 v[8:9], v[4:5], 0, 8
	s_and_saveexec_b64 s[0:1], vcc
	s_xor_b64 s[0:1], exec, s[0:1]
	s_cbranch_execz .LBB1_307
; %bb.302:                              ;   in Loop: Header=BB1_285 Depth=1
	v_cmp_ne_u32_e32 vcc, 0, v16
	v_mov_b64_e32 v[14:15], 0
	s_and_saveexec_b64 s[10:11], vcc
	s_cbranch_execz .LBB1_306
; %bb.303:                              ;   in Loop: Header=BB1_285 Depth=1
	s_mov_b64 s[12:13], 0
	v_mov_b64_e32 v[14:15], 0
	s_mov_b64 s[14:15], 0
	s_mov_b64 s[16:17], 0
.LBB1_304:                              ;   Parent Loop BB1_285 Depth=1
                                        ; =>  This Inner Loop Header: Depth=2
	v_lshl_add_u64 v[8:9], v[4:5], 0, s[16:17]
	global_load_ubyte v8, v[8:9], off
	s_add_u32 s16, s16, 1
	v_mov_b32_e32 v9, s18
	s_addc_u32 s17, s17, 0
	v_cmp_eq_u32_e32 vcc, s16, v16
	s_waitcnt vmcnt(0)
	v_and_b32_e32 v8, 0xffff, v8
	v_lshlrev_b64 v[8:9], s14, v[8:9]
	s_add_u32 s14, s14, 8
	s_addc_u32 s15, s15, 0
	v_or_b32_e32 v15, v9, v15
	s_or_b64 s[12:13], vcc, s[12:13]
	v_or_b32_e32 v14, v8, v14
	s_andn2_b64 exec, exec, s[12:13]
	s_cbranch_execnz .LBB1_304
; %bb.305:                              ;   in Loop: Header=BB1_285 Depth=1
	s_or_b64 exec, exec, s[12:13]
.LBB1_306:                              ;   in Loop: Header=BB1_285 Depth=1
	s_or_b64 exec, exec, s[10:11]
	v_mov_b64_e32 v[8:9], v[4:5]
                                        ; implicit-def: $vgpr16
.LBB1_307:                              ;   in Loop: Header=BB1_285 Depth=1
	s_or_saveexec_b64 s[0:1], s[0:1]
	v_mov_b32_e32 v18, 0
	s_xor_b64 exec, exec, s[0:1]
	s_cbranch_execz .LBB1_309
; %bb.308:                              ;   in Loop: Header=BB1_285 Depth=1
	global_load_dwordx2 v[14:15], v[4:5], off
	v_add_u32_e32 v18, -8, v16
.LBB1_309:                              ;   in Loop: Header=BB1_285 Depth=1
	s_or_b64 exec, exec, s[0:1]
	v_cmp_gt_u32_e32 vcc, 8, v18
	v_lshl_add_u64 v[4:5], v[8:9], 0, 8
                                        ; implicit-def: $vgpr16_vgpr17
	s_and_saveexec_b64 s[0:1], vcc
	s_xor_b64 s[0:1], exec, s[0:1]
	s_cbranch_execz .LBB1_315
; %bb.310:                              ;   in Loop: Header=BB1_285 Depth=1
	v_cmp_ne_u32_e32 vcc, 0, v18
	v_mov_b64_e32 v[16:17], 0
	s_and_saveexec_b64 s[10:11], vcc
	s_cbranch_execz .LBB1_314
; %bb.311:                              ;   in Loop: Header=BB1_285 Depth=1
	s_mov_b64 s[12:13], 0
	v_mov_b64_e32 v[16:17], 0
	s_mov_b64 s[14:15], 0
	s_mov_b64 s[16:17], 0
.LBB1_312:                              ;   Parent Loop BB1_285 Depth=1
                                        ; =>  This Inner Loop Header: Depth=2
	v_lshl_add_u64 v[4:5], v[8:9], 0, s[16:17]
	global_load_ubyte v4, v[4:5], off
	s_add_u32 s16, s16, 1
	v_mov_b32_e32 v5, s18
	s_addc_u32 s17, s17, 0
	v_cmp_eq_u32_e32 vcc, s16, v18
	s_waitcnt vmcnt(0)
	v_and_b32_e32 v4, 0xffff, v4
	v_lshlrev_b64 v[4:5], s14, v[4:5]
	s_add_u32 s14, s14, 8
	s_addc_u32 s15, s15, 0
	v_or_b32_e32 v17, v5, v17
	s_or_b64 s[12:13], vcc, s[12:13]
	v_or_b32_e32 v16, v4, v16
	s_andn2_b64 exec, exec, s[12:13]
	s_cbranch_execnz .LBB1_312
; %bb.313:                              ;   in Loop: Header=BB1_285 Depth=1
	s_or_b64 exec, exec, s[12:13]
.LBB1_314:                              ;   in Loop: Header=BB1_285 Depth=1
	s_or_b64 exec, exec, s[10:11]
	v_mov_b64_e32 v[4:5], v[8:9]
                                        ; implicit-def: $vgpr18
.LBB1_315:                              ;   in Loop: Header=BB1_285 Depth=1
	s_or_saveexec_b64 s[0:1], s[0:1]
	v_mov_b32_e32 v20, 0
	s_xor_b64 exec, exec, s[0:1]
	s_cbranch_execz .LBB1_317
; %bb.316:                              ;   in Loop: Header=BB1_285 Depth=1
	global_load_dwordx2 v[16:17], v[8:9], off
	v_add_u32_e32 v20, -8, v18
.LBB1_317:                              ;   in Loop: Header=BB1_285 Depth=1
	s_or_b64 exec, exec, s[0:1]
	v_cmp_gt_u32_e32 vcc, 8, v20
	v_lshl_add_u64 v[8:9], v[4:5], 0, 8
	s_and_saveexec_b64 s[0:1], vcc
	s_xor_b64 s[0:1], exec, s[0:1]
	s_cbranch_execz .LBB1_323
; %bb.318:                              ;   in Loop: Header=BB1_285 Depth=1
	v_cmp_ne_u32_e32 vcc, 0, v20
	v_mov_b64_e32 v[18:19], 0
	s_and_saveexec_b64 s[10:11], vcc
	s_cbranch_execz .LBB1_322
; %bb.319:                              ;   in Loop: Header=BB1_285 Depth=1
	s_mov_b64 s[12:13], 0
	v_mov_b64_e32 v[18:19], 0
	s_mov_b64 s[14:15], 0
	s_mov_b64 s[16:17], 0
.LBB1_320:                              ;   Parent Loop BB1_285 Depth=1
                                        ; =>  This Inner Loop Header: Depth=2
	v_lshl_add_u64 v[8:9], v[4:5], 0, s[16:17]
	global_load_ubyte v8, v[8:9], off
	s_add_u32 s16, s16, 1
	v_mov_b32_e32 v9, s18
	s_addc_u32 s17, s17, 0
	v_cmp_eq_u32_e32 vcc, s16, v20
	s_waitcnt vmcnt(0)
	v_and_b32_e32 v8, 0xffff, v8
	v_lshlrev_b64 v[8:9], s14, v[8:9]
	s_add_u32 s14, s14, 8
	s_addc_u32 s15, s15, 0
	v_or_b32_e32 v19, v9, v19
	s_or_b64 s[12:13], vcc, s[12:13]
	v_or_b32_e32 v18, v8, v18
	s_andn2_b64 exec, exec, s[12:13]
	s_cbranch_execnz .LBB1_320
; %bb.321:                              ;   in Loop: Header=BB1_285 Depth=1
	s_or_b64 exec, exec, s[12:13]
.LBB1_322:                              ;   in Loop: Header=BB1_285 Depth=1
	s_or_b64 exec, exec, s[10:11]
	v_mov_b64_e32 v[8:9], v[4:5]
                                        ; implicit-def: $vgpr20
.LBB1_323:                              ;   in Loop: Header=BB1_285 Depth=1
	s_or_saveexec_b64 s[0:1], s[0:1]
	v_mov_b32_e32 v22, 0
	s_xor_b64 exec, exec, s[0:1]
	s_cbranch_execz .LBB1_325
; %bb.324:                              ;   in Loop: Header=BB1_285 Depth=1
	global_load_dwordx2 v[18:19], v[4:5], off
	v_add_u32_e32 v22, -8, v20
.LBB1_325:                              ;   in Loop: Header=BB1_285 Depth=1
	s_or_b64 exec, exec, s[0:1]
	v_cmp_gt_u32_e32 vcc, 8, v22
	v_lshl_add_u64 v[4:5], v[8:9], 0, 8
                                        ; implicit-def: $vgpr20_vgpr21
	s_and_saveexec_b64 s[0:1], vcc
	s_xor_b64 s[0:1], exec, s[0:1]
	s_cbranch_execz .LBB1_331
; %bb.326:                              ;   in Loop: Header=BB1_285 Depth=1
	v_cmp_ne_u32_e32 vcc, 0, v22
	v_mov_b64_e32 v[20:21], 0
	s_and_saveexec_b64 s[10:11], vcc
	s_cbranch_execz .LBB1_330
; %bb.327:                              ;   in Loop: Header=BB1_285 Depth=1
	s_mov_b64 s[12:13], 0
	v_mov_b64_e32 v[20:21], 0
	s_mov_b64 s[14:15], 0
	s_mov_b64 s[16:17], 0
.LBB1_328:                              ;   Parent Loop BB1_285 Depth=1
                                        ; =>  This Inner Loop Header: Depth=2
	v_lshl_add_u64 v[4:5], v[8:9], 0, s[16:17]
	global_load_ubyte v4, v[4:5], off
	s_add_u32 s16, s16, 1
	v_mov_b32_e32 v5, s18
	s_addc_u32 s17, s17, 0
	v_cmp_eq_u32_e32 vcc, s16, v22
	s_waitcnt vmcnt(0)
	v_and_b32_e32 v4, 0xffff, v4
	v_lshlrev_b64 v[4:5], s14, v[4:5]
	s_add_u32 s14, s14, 8
	s_addc_u32 s15, s15, 0
	v_or_b32_e32 v21, v5, v21
	s_or_b64 s[12:13], vcc, s[12:13]
	v_or_b32_e32 v20, v4, v20
	s_andn2_b64 exec, exec, s[12:13]
	s_cbranch_execnz .LBB1_328
; %bb.329:                              ;   in Loop: Header=BB1_285 Depth=1
	s_or_b64 exec, exec, s[12:13]
.LBB1_330:                              ;   in Loop: Header=BB1_285 Depth=1
	s_or_b64 exec, exec, s[10:11]
	v_mov_b64_e32 v[4:5], v[8:9]
                                        ; implicit-def: $vgpr22
.LBB1_331:                              ;   in Loop: Header=BB1_285 Depth=1
	s_or_saveexec_b64 s[0:1], s[0:1]
	v_mov_b32_e32 v24, 0
	s_xor_b64 exec, exec, s[0:1]
	s_cbranch_execz .LBB1_333
; %bb.332:                              ;   in Loop: Header=BB1_285 Depth=1
	global_load_dwordx2 v[20:21], v[8:9], off
	v_add_u32_e32 v24, -8, v22
.LBB1_333:                              ;   in Loop: Header=BB1_285 Depth=1
	s_or_b64 exec, exec, s[0:1]
	v_cmp_gt_u32_e32 vcc, 8, v24
	s_and_saveexec_b64 s[0:1], vcc
	s_xor_b64 s[0:1], exec, s[0:1]
	s_cbranch_execz .LBB1_339
; %bb.334:                              ;   in Loop: Header=BB1_285 Depth=1
	v_cmp_ne_u32_e32 vcc, 0, v24
	v_mov_b64_e32 v[22:23], 0
	s_and_saveexec_b64 s[10:11], vcc
	s_cbranch_execz .LBB1_338
; %bb.335:                              ;   in Loop: Header=BB1_285 Depth=1
	s_mov_b64 s[12:13], 0
	v_mov_b64_e32 v[22:23], 0
	s_mov_b64 s[14:15], 0
.LBB1_336:                              ;   Parent Loop BB1_285 Depth=1
                                        ; =>  This Inner Loop Header: Depth=2
	global_load_ubyte v8, v[4:5], off
	v_mov_b32_e32 v9, s18
	v_add_u32_e32 v24, -1, v24
	v_cmp_eq_u32_e32 vcc, 0, v24
	v_lshl_add_u64 v[4:5], v[4:5], 0, 1
	s_waitcnt vmcnt(0)
	v_and_b32_e32 v8, 0xffff, v8
	v_lshlrev_b64 v[8:9], s14, v[8:9]
	s_add_u32 s14, s14, 8
	s_addc_u32 s15, s15, 0
	v_or_b32_e32 v23, v9, v23
	s_or_b64 s[12:13], vcc, s[12:13]
	v_or_b32_e32 v22, v8, v22
	s_andn2_b64 exec, exec, s[12:13]
	s_cbranch_execnz .LBB1_336
; %bb.337:                              ;   in Loop: Header=BB1_285 Depth=1
	s_or_b64 exec, exec, s[12:13]
.LBB1_338:                              ;   in Loop: Header=BB1_285 Depth=1
	s_or_b64 exec, exec, s[10:11]
                                        ; implicit-def: $vgpr4_vgpr5
.LBB1_339:                              ;   in Loop: Header=BB1_285 Depth=1
	s_andn2_saveexec_b64 s[0:1], s[0:1]
	s_cbranch_execz .LBB1_341
; %bb.340:                              ;   in Loop: Header=BB1_285 Depth=1
	global_load_dwordx2 v[22:23], v[4:5], off
.LBB1_341:                              ;   in Loop: Header=BB1_285 Depth=1
	s_or_b64 exec, exec, s[0:1]
	v_readfirstlane_b32 s0, v52
	v_mov_b64_e32 v[4:5], 0
	s_nop 0
	v_cmp_eq_u32_e64 s[0:1], s0, v52
	s_and_saveexec_b64 s[10:11], s[0:1]
	s_cbranch_execz .LBB1_347
; %bb.342:                              ;   in Loop: Header=BB1_285 Depth=1
	global_load_dwordx2 v[26:27], v35, s[2:3] offset:24 sc0 sc1
	s_waitcnt vmcnt(0)
	buffer_inv sc0 sc1
	global_load_dwordx2 v[4:5], v35, s[2:3] offset:40
	global_load_dwordx2 v[8:9], v35, s[2:3]
	s_waitcnt vmcnt(1)
	v_and_b32_e32 v4, v4, v26
	v_and_b32_e32 v5, v5, v27
	v_mul_lo_u32 v5, v5, 24
	v_mul_hi_u32 v24, v4, 24
	v_add_u32_e32 v5, v24, v5
	v_mul_lo_u32 v4, v4, 24
	s_waitcnt vmcnt(0)
	v_lshl_add_u64 v[4:5], v[8:9], 0, v[4:5]
	global_load_dwordx2 v[24:25], v[4:5], off sc0 sc1
	s_waitcnt vmcnt(0)
	global_atomic_cmpswap_x2 v[4:5], v35, v[24:27], s[2:3] offset:24 sc0 sc1
	s_waitcnt vmcnt(0)
	buffer_inv sc0 sc1
	v_cmp_ne_u64_e32 vcc, v[4:5], v[26:27]
	s_and_saveexec_b64 s[12:13], vcc
	s_cbranch_execz .LBB1_346
; %bb.343:                              ;   in Loop: Header=BB1_285 Depth=1
	s_mov_b64 s[14:15], 0
.LBB1_344:                              ;   Parent Loop BB1_285 Depth=1
                                        ; =>  This Inner Loop Header: Depth=2
	s_sleep 1
	global_load_dwordx2 v[8:9], v35, s[2:3] offset:40
	global_load_dwordx2 v[24:25], v35, s[2:3]
	v_mov_b64_e32 v[26:27], v[4:5]
	s_waitcnt vmcnt(1)
	v_and_b32_e32 v4, v8, v26
	s_waitcnt vmcnt(0)
	v_mad_u64_u32 v[4:5], s[16:17], v4, 24, v[24:25]
	v_and_b32_e32 v9, v9, v27
	v_mov_b32_e32 v8, v5
	v_mad_u64_u32 v[8:9], s[16:17], v9, 24, v[8:9]
	v_mov_b32_e32 v5, v8
	global_load_dwordx2 v[24:25], v[4:5], off sc0 sc1
	s_waitcnt vmcnt(0)
	global_atomic_cmpswap_x2 v[4:5], v35, v[24:27], s[2:3] offset:24 sc0 sc1
	s_waitcnt vmcnt(0)
	buffer_inv sc0 sc1
	v_cmp_eq_u64_e32 vcc, v[4:5], v[26:27]
	s_or_b64 s[14:15], vcc, s[14:15]
	s_andn2_b64 exec, exec, s[14:15]
	s_cbranch_execnz .LBB1_344
; %bb.345:                              ;   in Loop: Header=BB1_285 Depth=1
	s_or_b64 exec, exec, s[14:15]
.LBB1_346:                              ;   in Loop: Header=BB1_285 Depth=1
	s_or_b64 exec, exec, s[12:13]
.LBB1_347:                              ;   in Loop: Header=BB1_285 Depth=1
	s_or_b64 exec, exec, s[10:11]
	global_load_dwordx2 v[8:9], v35, s[2:3] offset:40
	global_load_dwordx4 v[24:27], v35, s[2:3]
	v_readfirstlane_b32 s11, v5
	v_readfirstlane_b32 s10, v4
	s_mov_b64 s[12:13], exec
	s_waitcnt vmcnt(1)
	v_readfirstlane_b32 s14, v8
	v_readfirstlane_b32 s15, v9
	s_and_b64 s[14:15], s[14:15], s[10:11]
	s_mul_i32 s16, s15, 24
	s_mul_hi_u32 s17, s14, 24
	s_add_i32 s17, s17, s16
	s_mul_i32 s16, s14, 24
	s_waitcnt vmcnt(0)
	v_lshl_add_u64 v[4:5], v[24:25], 0, s[16:17]
	s_and_saveexec_b64 s[16:17], s[0:1]
	s_cbranch_execz .LBB1_349
; %bb.348:                              ;   in Loop: Header=BB1_285 Depth=1
	v_mov_b64_e32 v[8:9], s[12:13]
	global_store_dwordx4 v[4:5], v[8:11], off offset:8
.LBB1_349:                              ;   in Loop: Header=BB1_285 Depth=1
	s_or_b64 exec, exec, s[16:17]
	s_lshl_b64 s[12:13], s[14:15], 12
	v_cmp_gt_u64_e32 vcc, 57, v[28:29]
	v_lshl_add_u64 v[8:9], v[26:27], 0, s[12:13]
	v_and_b32_e32 v0, 0xffffff1f, v0
	v_cndmask_b32_e32 v26, 0, v30, vcc
	v_lshl_add_u32 v27, v32, 2, 28
	v_or_b32_e32 v0, v0, v26
	v_and_or_b32 v0, v27, s19, v0
	v_readfirstlane_b32 s12, v8
	v_readfirstlane_b32 s13, v9
	s_nop 4
	global_store_dwordx4 v34, v[0:3], s[12:13]
	global_store_dwordx4 v34, v[12:15], s[12:13] offset:16
	global_store_dwordx4 v34, v[16:19], s[12:13] offset:32
	;; [unrolled: 1-line block ×3, first 2 shown]
	s_and_saveexec_b64 s[12:13], s[0:1]
	s_cbranch_execz .LBB1_357
; %bb.350:                              ;   in Loop: Header=BB1_285 Depth=1
	global_load_dwordx2 v[16:17], v35, s[2:3] offset:32 sc0 sc1
	global_load_dwordx2 v[0:1], v35, s[2:3] offset:40
	v_mov_b32_e32 v14, s10
	v_mov_b32_e32 v15, s11
	s_waitcnt vmcnt(0)
	v_readfirstlane_b32 s14, v0
	v_readfirstlane_b32 s15, v1
	s_and_b64 s[14:15], s[14:15], s[10:11]
	s_mul_i32 s15, s15, 24
	s_mul_hi_u32 s16, s14, 24
	s_mul_i32 s14, s14, 24
	s_add_i32 s15, s16, s15
	v_lshl_add_u64 v[12:13], v[24:25], 0, s[14:15]
	global_store_dwordx2 v[12:13], v[16:17], off
	buffer_wbl2 sc0 sc1
	s_waitcnt vmcnt(0)
	global_atomic_cmpswap_x2 v[2:3], v35, v[14:17], s[2:3] offset:32 sc0 sc1
	s_waitcnt vmcnt(0)
	v_cmp_ne_u64_e32 vcc, v[2:3], v[16:17]
	s_and_saveexec_b64 s[14:15], vcc
	s_cbranch_execz .LBB1_353
; %bb.351:                              ;   in Loop: Header=BB1_285 Depth=1
	s_mov_b64 s[16:17], 0
.LBB1_352:                              ;   Parent Loop BB1_285 Depth=1
                                        ; =>  This Inner Loop Header: Depth=2
	s_sleep 1
	global_store_dwordx2 v[12:13], v[2:3], off
	v_mov_b32_e32 v0, s10
	v_mov_b32_e32 v1, s11
	buffer_wbl2 sc0 sc1
	s_waitcnt vmcnt(0)
	global_atomic_cmpswap_x2 v[0:1], v35, v[0:3], s[2:3] offset:32 sc0 sc1
	s_waitcnt vmcnt(0)
	v_cmp_eq_u64_e32 vcc, v[0:1], v[2:3]
	s_or_b64 s[16:17], vcc, s[16:17]
	v_mov_b64_e32 v[2:3], v[0:1]
	s_andn2_b64 exec, exec, s[16:17]
	s_cbranch_execnz .LBB1_352
.LBB1_353:                              ;   in Loop: Header=BB1_285 Depth=1
	s_or_b64 exec, exec, s[14:15]
	global_load_dwordx2 v[0:1], v35, s[2:3] offset:16
	s_mov_b64 s[16:17], exec
	v_mbcnt_lo_u32_b32 v2, s16, 0
	v_mbcnt_hi_u32_b32 v2, s17, v2
	v_cmp_eq_u32_e32 vcc, 0, v2
	s_and_saveexec_b64 s[14:15], vcc
	s_cbranch_execz .LBB1_355
; %bb.354:                              ;   in Loop: Header=BB1_285 Depth=1
	s_bcnt1_i32_b64 s16, s[16:17]
	v_mov_b32_e32 v2, s16
	v_mov_b32_e32 v3, v35
	buffer_wbl2 sc0 sc1
	s_waitcnt vmcnt(0)
	global_atomic_add_x2 v[0:1], v[2:3], off offset:8 sc1
.LBB1_355:                              ;   in Loop: Header=BB1_285 Depth=1
	s_or_b64 exec, exec, s[14:15]
	s_waitcnt vmcnt(0)
	global_load_dwordx2 v[2:3], v[0:1], off offset:16
	s_waitcnt vmcnt(0)
	v_cmp_eq_u64_e32 vcc, 0, v[2:3]
	s_cbranch_vccnz .LBB1_357
; %bb.356:                              ;   in Loop: Header=BB1_285 Depth=1
	global_load_dword v0, v[0:1], off offset:24
	v_mov_b32_e32 v1, v35
	s_waitcnt vmcnt(0)
	v_readfirstlane_b32 s14, v0
	s_and_b32 m0, s14, 0xffffff
	buffer_wbl2 sc0 sc1
	global_store_dwordx2 v[2:3], v[0:1], off sc0 sc1
	s_sendmsg sendmsg(MSG_INTERRUPT)
.LBB1_357:                              ;   in Loop: Header=BB1_285 Depth=1
	s_or_b64 exec, exec, s[12:13]
	v_lshl_add_u64 v[0:1], v[8:9], 0, v[34:35]
	s_branch .LBB1_361
.LBB1_358:                              ;   in Loop: Header=BB1_361 Depth=2
	s_or_b64 exec, exec, s[12:13]
	v_readfirstlane_b32 s12, v2
	s_cmp_eq_u32 s12, 0
	s_cbranch_scc1 .LBB1_360
; %bb.359:                              ;   in Loop: Header=BB1_361 Depth=2
	s_sleep 1
	s_cbranch_execnz .LBB1_361
	s_branch .LBB1_363
.LBB1_360:                              ;   in Loop: Header=BB1_285 Depth=1
	s_branch .LBB1_363
.LBB1_361:                              ;   Parent Loop BB1_285 Depth=1
                                        ; =>  This Inner Loop Header: Depth=2
	v_mov_b32_e32 v2, 1
	s_and_saveexec_b64 s[12:13], s[0:1]
	s_cbranch_execz .LBB1_358
; %bb.362:                              ;   in Loop: Header=BB1_361 Depth=2
	global_load_dword v2, v[4:5], off offset:20 sc0 sc1
	s_waitcnt vmcnt(0)
	buffer_inv sc0 sc1
	v_and_b32_e32 v2, 1, v2
	s_branch .LBB1_358
.LBB1_363:                              ;   in Loop: Header=BB1_285 Depth=1
	global_load_dwordx2 v[0:1], v[0:1], off
	s_and_saveexec_b64 s[12:13], s[0:1]
	s_cbranch_execz .LBB1_284
; %bb.364:                              ;   in Loop: Header=BB1_285 Depth=1
	global_load_dwordx2 v[2:3], v35, s[2:3] offset:40
	global_load_dwordx2 v[14:15], v35, s[2:3] offset:24 sc0 sc1
	global_load_dwordx2 v[4:5], v35, s[2:3]
	s_waitcnt vmcnt(2)
	v_readfirstlane_b32 s14, v2
	v_readfirstlane_b32 s15, v3
	s_add_u32 s16, s14, 1
	s_addc_u32 s17, s15, 0
	s_add_u32 s0, s16, s10
	s_addc_u32 s1, s17, s11
	s_cmp_eq_u64 s[0:1], 0
	s_cselect_b32 s1, s17, s1
	s_cselect_b32 s0, s16, s0
	s_and_b64 s[10:11], s[0:1], s[14:15]
	s_mul_i32 s11, s11, 24
	s_mul_hi_u32 s14, s10, 24
	s_mul_i32 s10, s10, 24
	s_add_i32 s11, s14, s11
	s_waitcnt vmcnt(0)
	v_lshl_add_u64 v[8:9], v[4:5], 0, s[10:11]
	v_mov_b32_e32 v12, s0
	global_store_dwordx2 v[8:9], v[14:15], off
	v_mov_b32_e32 v13, s1
	buffer_wbl2 sc0 sc1
	s_waitcnt vmcnt(0)
	global_atomic_cmpswap_x2 v[4:5], v35, v[12:15], s[2:3] offset:24 sc0 sc1
	s_waitcnt vmcnt(0)
	v_cmp_ne_u64_e32 vcc, v[4:5], v[14:15]
	s_and_b64 exec, exec, vcc
	s_cbranch_execz .LBB1_284
; %bb.365:                              ;   in Loop: Header=BB1_285 Depth=1
	s_mov_b64 s[10:11], 0
.LBB1_366:                              ;   Parent Loop BB1_285 Depth=1
                                        ; =>  This Inner Loop Header: Depth=2
	s_sleep 1
	global_store_dwordx2 v[8:9], v[4:5], off
	v_mov_b32_e32 v2, s0
	v_mov_b32_e32 v3, s1
	buffer_wbl2 sc0 sc1
	s_waitcnt vmcnt(0)
	global_atomic_cmpswap_x2 v[2:3], v35, v[2:5], s[2:3] offset:24 sc0 sc1
	s_waitcnt vmcnt(0)
	v_cmp_eq_u64_e32 vcc, v[2:3], v[4:5]
	s_or_b64 s[10:11], vcc, s[10:11]
	v_mov_b64_e32 v[4:5], v[2:3]
	s_andn2_b64 exec, exec, s[10:11]
	s_cbranch_execnz .LBB1_366
	s_branch .LBB1_284
.LBB1_367:
	s_or_b64 exec, exec, s[4:5]
                                        ; implicit-def: $vgpr34
                                        ; implicit-def: $vgpr52
.LBB1_368:
	s_andn2_saveexec_b64 s[4:5], s[6:7]
	s_cbranch_execz .LBB1_395
; %bb.369:
	v_readfirstlane_b32 s0, v52
	v_mov_b64_e32 v[2:3], 0
	s_nop 0
	v_cmp_eq_u32_e64 s[0:1], s0, v52
	s_and_saveexec_b64 s[6:7], s[0:1]
	s_cbranch_execz .LBB1_375
; %bb.370:
	v_mov_b32_e32 v4, 0
	global_load_dwordx2 v[10:11], v4, s[2:3] offset:24 sc0 sc1
	s_waitcnt vmcnt(0)
	buffer_inv sc0 sc1
	global_load_dwordx2 v[2:3], v4, s[2:3] offset:40
	global_load_dwordx2 v[8:9], v4, s[2:3]
	s_waitcnt vmcnt(1)
	v_and_b32_e32 v2, v2, v10
	v_and_b32_e32 v3, v3, v11
	v_mul_lo_u32 v3, v3, 24
	v_mul_hi_u32 v5, v2, 24
	v_add_u32_e32 v3, v5, v3
	v_mul_lo_u32 v2, v2, 24
	s_waitcnt vmcnt(0)
	v_lshl_add_u64 v[2:3], v[8:9], 0, v[2:3]
	global_load_dwordx2 v[8:9], v[2:3], off sc0 sc1
	s_waitcnt vmcnt(0)
	global_atomic_cmpswap_x2 v[2:3], v4, v[8:11], s[2:3] offset:24 sc0 sc1
	s_waitcnt vmcnt(0)
	buffer_inv sc0 sc1
	v_cmp_ne_u64_e32 vcc, v[2:3], v[10:11]
	s_and_saveexec_b64 s[10:11], vcc
	s_cbranch_execz .LBB1_374
; %bb.371:
	s_mov_b64 s[12:13], 0
.LBB1_372:                              ; =>This Inner Loop Header: Depth=1
	s_sleep 1
	global_load_dwordx2 v[8:9], v4, s[2:3] offset:40
	global_load_dwordx2 v[12:13], v4, s[2:3]
	v_mov_b64_e32 v[10:11], v[2:3]
	s_waitcnt vmcnt(1)
	v_and_b32_e32 v2, v8, v10
	s_waitcnt vmcnt(0)
	v_mad_u64_u32 v[2:3], s[14:15], v2, 24, v[12:13]
	v_and_b32_e32 v5, v9, v11
	v_mov_b32_e32 v8, v3
	v_mad_u64_u32 v[8:9], s[14:15], v5, 24, v[8:9]
	v_mov_b32_e32 v3, v8
	global_load_dwordx2 v[8:9], v[2:3], off sc0 sc1
	s_waitcnt vmcnt(0)
	global_atomic_cmpswap_x2 v[2:3], v4, v[8:11], s[2:3] offset:24 sc0 sc1
	s_waitcnt vmcnt(0)
	buffer_inv sc0 sc1
	v_cmp_eq_u64_e32 vcc, v[2:3], v[10:11]
	s_or_b64 s[12:13], vcc, s[12:13]
	s_andn2_b64 exec, exec, s[12:13]
	s_cbranch_execnz .LBB1_372
; %bb.373:
	s_or_b64 exec, exec, s[12:13]
.LBB1_374:
	s_or_b64 exec, exec, s[10:11]
.LBB1_375:
	s_or_b64 exec, exec, s[6:7]
	v_mov_b32_e32 v35, 0
	global_load_dwordx2 v[4:5], v35, s[2:3] offset:40
	global_load_dwordx4 v[8:11], v35, s[2:3]
	v_readfirstlane_b32 s7, v3
	v_readfirstlane_b32 s6, v2
	s_mov_b64 s[10:11], exec
	s_waitcnt vmcnt(1)
	v_readfirstlane_b32 s12, v4
	v_readfirstlane_b32 s13, v5
	s_and_b64 s[12:13], s[12:13], s[6:7]
	s_mul_i32 s14, s13, 24
	s_mul_hi_u32 s15, s12, 24
	s_add_i32 s15, s15, s14
	s_mul_i32 s14, s12, 24
	s_waitcnt vmcnt(0)
	v_lshl_add_u64 v[4:5], v[8:9], 0, s[14:15]
	s_and_saveexec_b64 s[14:15], s[0:1]
	s_cbranch_execz .LBB1_377
; %bb.376:
	v_mov_b64_e32 v[12:13], s[10:11]
	v_mov_b32_e32 v14, 2
	v_mov_b32_e32 v15, 1
	global_store_dwordx4 v[4:5], v[12:15], off offset:8
.LBB1_377:
	s_or_b64 exec, exec, s[14:15]
	s_lshl_b64 s[10:11], s[12:13], 12
	v_lshl_add_u64 v[10:11], v[10:11], 0, s[10:11]
	s_movk_i32 s10, 0xff1f
	s_mov_b32 s12, 0
	v_and_or_b32 v0, v0, s10, 32
	v_mov_b32_e32 v2, v35
	v_mov_b32_e32 v3, v35
	v_readfirstlane_b32 s10, v10
	v_readfirstlane_b32 s11, v11
	s_mov_b32 s13, s12
	s_mov_b32 s14, s12
	;; [unrolled: 1-line block ×3, first 2 shown]
	s_nop 1
	global_store_dwordx4 v34, v[0:3], s[10:11]
	s_nop 1
	v_mov_b64_e32 v[0:1], s[12:13]
	v_mov_b64_e32 v[2:3], s[14:15]
	global_store_dwordx4 v34, v[0:3], s[10:11] offset:16
	global_store_dwordx4 v34, v[0:3], s[10:11] offset:32
	;; [unrolled: 1-line block ×3, first 2 shown]
	s_and_saveexec_b64 s[10:11], s[0:1]
	s_cbranch_execz .LBB1_385
; %bb.378:
	v_mov_b32_e32 v12, 0
	global_load_dwordx2 v[16:17], v12, s[2:3] offset:32 sc0 sc1
	global_load_dwordx2 v[0:1], v12, s[2:3] offset:40
	v_mov_b32_e32 v14, s6
	v_mov_b32_e32 v15, s7
	s_waitcnt vmcnt(0)
	v_readfirstlane_b32 s12, v0
	v_readfirstlane_b32 s13, v1
	s_and_b64 s[12:13], s[12:13], s[6:7]
	s_mul_i32 s13, s13, 24
	s_mul_hi_u32 s14, s12, 24
	s_mul_i32 s12, s12, 24
	s_add_i32 s13, s14, s13
	v_lshl_add_u64 v[8:9], v[8:9], 0, s[12:13]
	global_store_dwordx2 v[8:9], v[16:17], off
	buffer_wbl2 sc0 sc1
	s_waitcnt vmcnt(0)
	global_atomic_cmpswap_x2 v[2:3], v12, v[14:17], s[2:3] offset:32 sc0 sc1
	s_waitcnt vmcnt(0)
	v_cmp_ne_u64_e32 vcc, v[2:3], v[16:17]
	s_and_saveexec_b64 s[12:13], vcc
	s_cbranch_execz .LBB1_381
; %bb.379:
	s_mov_b64 s[14:15], 0
.LBB1_380:                              ; =>This Inner Loop Header: Depth=1
	s_sleep 1
	global_store_dwordx2 v[8:9], v[2:3], off
	v_mov_b32_e32 v0, s6
	v_mov_b32_e32 v1, s7
	buffer_wbl2 sc0 sc1
	s_waitcnt vmcnt(0)
	global_atomic_cmpswap_x2 v[0:1], v12, v[0:3], s[2:3] offset:32 sc0 sc1
	s_waitcnt vmcnt(0)
	v_cmp_eq_u64_e32 vcc, v[0:1], v[2:3]
	s_or_b64 s[14:15], vcc, s[14:15]
	v_mov_b64_e32 v[2:3], v[0:1]
	s_andn2_b64 exec, exec, s[14:15]
	s_cbranch_execnz .LBB1_380
.LBB1_381:
	s_or_b64 exec, exec, s[12:13]
	v_mov_b32_e32 v3, 0
	global_load_dwordx2 v[0:1], v3, s[2:3] offset:16
	s_mov_b64 s[12:13], exec
	v_mbcnt_lo_u32_b32 v2, s12, 0
	v_mbcnt_hi_u32_b32 v2, s13, v2
	v_cmp_eq_u32_e32 vcc, 0, v2
	s_and_saveexec_b64 s[14:15], vcc
	s_cbranch_execz .LBB1_383
; %bb.382:
	s_bcnt1_i32_b64 s12, s[12:13]
	v_mov_b32_e32 v2, s12
	buffer_wbl2 sc0 sc1
	s_waitcnt vmcnt(0)
	global_atomic_add_x2 v[0:1], v[2:3], off offset:8 sc1
.LBB1_383:
	s_or_b64 exec, exec, s[14:15]
	s_waitcnt vmcnt(0)
	global_load_dwordx2 v[2:3], v[0:1], off offset:16
	s_waitcnt vmcnt(0)
	v_cmp_eq_u64_e32 vcc, 0, v[2:3]
	s_cbranch_vccnz .LBB1_385
; %bb.384:
	global_load_dword v0, v[0:1], off offset:24
	v_mov_b32_e32 v1, 0
	s_waitcnt vmcnt(0)
	v_readfirstlane_b32 s12, v0
	s_and_b32 m0, s12, 0xffffff
	buffer_wbl2 sc0 sc1
	global_store_dwordx2 v[2:3], v[0:1], off sc0 sc1
	s_sendmsg sendmsg(MSG_INTERRUPT)
.LBB1_385:
	s_or_b64 exec, exec, s[10:11]
	v_lshl_add_u64 v[0:1], v[10:11], 0, v[34:35]
	s_branch .LBB1_389
.LBB1_386:                              ;   in Loop: Header=BB1_389 Depth=1
	s_or_b64 exec, exec, s[10:11]
	v_readfirstlane_b32 s10, v2
	s_cmp_eq_u32 s10, 0
	s_cbranch_scc1 .LBB1_388
; %bb.387:                              ;   in Loop: Header=BB1_389 Depth=1
	s_sleep 1
	s_cbranch_execnz .LBB1_389
	s_branch .LBB1_391
.LBB1_388:
	s_branch .LBB1_391
.LBB1_389:                              ; =>This Inner Loop Header: Depth=1
	v_mov_b32_e32 v2, 1
	s_and_saveexec_b64 s[10:11], s[0:1]
	s_cbranch_execz .LBB1_386
; %bb.390:                              ;   in Loop: Header=BB1_389 Depth=1
	global_load_dword v2, v[4:5], off offset:20 sc0 sc1
	s_waitcnt vmcnt(0)
	buffer_inv sc0 sc1
	v_and_b32_e32 v2, 1, v2
	s_branch .LBB1_386
.LBB1_391:
	global_load_dwordx2 v[0:1], v[0:1], off
	s_and_saveexec_b64 s[10:11], s[0:1]
	s_cbranch_execz .LBB1_394
; %bb.392:
	v_mov_b32_e32 v10, 0
	global_load_dwordx2 v[2:3], v10, s[2:3] offset:40
	global_load_dwordx2 v[14:15], v10, s[2:3] offset:24 sc0 sc1
	global_load_dwordx2 v[4:5], v10, s[2:3]
	s_waitcnt vmcnt(2)
	v_readfirstlane_b32 s12, v2
	v_readfirstlane_b32 s13, v3
	s_add_u32 s14, s12, 1
	s_addc_u32 s15, s13, 0
	s_add_u32 s0, s14, s6
	s_addc_u32 s1, s15, s7
	s_cmp_eq_u64 s[0:1], 0
	s_cselect_b32 s1, s15, s1
	s_cselect_b32 s0, s14, s0
	s_and_b64 s[6:7], s[0:1], s[12:13]
	s_mul_i32 s7, s7, 24
	s_mul_hi_u32 s12, s6, 24
	s_mul_i32 s6, s6, 24
	s_add_i32 s7, s12, s7
	s_waitcnt vmcnt(0)
	v_lshl_add_u64 v[8:9], v[4:5], 0, s[6:7]
	v_mov_b32_e32 v12, s0
	global_store_dwordx2 v[8:9], v[14:15], off
	v_mov_b32_e32 v13, s1
	buffer_wbl2 sc0 sc1
	s_waitcnt vmcnt(0)
	global_atomic_cmpswap_x2 v[4:5], v10, v[12:15], s[2:3] offset:24 sc0 sc1
	s_mov_b64 s[6:7], 0
	s_waitcnt vmcnt(0)
	v_cmp_ne_u64_e32 vcc, v[4:5], v[14:15]
	s_and_b64 exec, exec, vcc
	s_cbranch_execz .LBB1_394
.LBB1_393:                              ; =>This Inner Loop Header: Depth=1
	s_sleep 1
	global_store_dwordx2 v[8:9], v[4:5], off
	v_mov_b32_e32 v2, s0
	v_mov_b32_e32 v3, s1
	buffer_wbl2 sc0 sc1
	s_waitcnt vmcnt(0)
	global_atomic_cmpswap_x2 v[2:3], v10, v[2:5], s[2:3] offset:24 sc0 sc1
	s_waitcnt vmcnt(0)
	v_cmp_eq_u64_e32 vcc, v[2:3], v[4:5]
	s_or_b64 s[6:7], vcc, s[6:7]
	v_mov_b64_e32 v[4:5], v[2:3]
	s_andn2_b64 exec, exec, s[6:7]
	s_cbranch_execnz .LBB1_393
.LBB1_394:
	s_or_b64 exec, exec, s[10:11]
.LBB1_395:
	s_or_b64 exec, exec, s[4:5]
	s_mov_b64 s[0:1], 0
	v_mov_b64_e32 v[2:3], v[6:7]
.LBB1_396:                              ; =>This Inner Loop Header: Depth=1
	global_load_ubyte v4, v[2:3], off
	v_lshl_add_u64 v[2:3], v[2:3], 0, 1
	s_waitcnt vmcnt(0)
	v_cmp_eq_u16_e32 vcc, 0, v4
	s_or_b64 s[0:1], vcc, s[0:1]
	s_andn2_b64 exec, exec, s[0:1]
	s_cbranch_execnz .LBB1_396
; %bb.397:
	s_or_b64 exec, exec, s[0:1]
	v_sub_u32_e32 v4, v2, v6
	v_ashrrev_i32_e32 v5, 31, v4
	s_getpc_b64 s[0:1]
	s_add_u32 s0, s0, __ockl_fprintf_append_string_n@rel32@lo+4
	s_addc_u32 s1, s1, __ockl_fprintf_append_string_n@rel32@hi+12
	v_mov_b32_e32 v2, v6
	v_mov_b32_e32 v3, v7
	;; [unrolled: 1-line block ×3, first 2 shown]
	s_swappc_b64 s[30:31], s[0:1]
	s_trap 2
.Lfunc_end1:
	.size	__assert_fail, .Lfunc_end1-__assert_fail
                                        ; -- End function
	.set .L__assert_fail.num_vgpr, max(53, .L__ockl_fprintf_append_string_n.num_vgpr)
	.set .L__assert_fail.num_agpr, max(0, .L__ockl_fprintf_append_string_n.num_agpr)
	.set .L__assert_fail.numbered_sgpr, max(34, .L__ockl_fprintf_append_string_n.numbered_sgpr)
	.set .L__assert_fail.num_named_barrier, max(0, .L__ockl_fprintf_append_string_n.num_named_barrier)
	.set .L__assert_fail.private_seg_size, 64+max(.L__ockl_fprintf_append_string_n.private_seg_size)
	.set .L__assert_fail.uses_vcc, or(1, .L__ockl_fprintf_append_string_n.uses_vcc)
	.set .L__assert_fail.uses_flat_scratch, or(0, .L__ockl_fprintf_append_string_n.uses_flat_scratch)
	.set .L__assert_fail.has_dyn_sized_stack, or(0, .L__ockl_fprintf_append_string_n.has_dyn_sized_stack)
	.set .L__assert_fail.has_recursion, or(0, .L__ockl_fprintf_append_string_n.has_recursion)
	.set .L__assert_fail.has_indirect_call, or(0, .L__ockl_fprintf_append_string_n.has_indirect_call)
	.section	.AMDGPU.csdata,"",@progbits
; Function info:
; codeLenInByte = 13740
; TotalNumSgprs: 40
; NumVgprs: 53
; NumAgprs: 0
; TotalNumVgprs: 53
; ScratchSize: 64
; MemoryBound: 0
	.text
	.p2align	2                               ; -- Begin function _ZN3sop14minatoIsop5RecEjjiPNS_3SopEP7VecsMemIjLi8192EE
	.type	_ZN3sop14minatoIsop5RecEjjiPNS_3SopEP7VecsMemIjLi8192EE,@function
_ZN3sop14minatoIsop5RecEjjiPNS_3SopEP7VecsMemIjLi8192EE: ; @_ZN3sop14minatoIsop5RecEjjiPNS_3SopEP7VecsMemIjLi8192EE
; %bb.0:
	s_waitcnt vmcnt(0) expcnt(0) lgkmcnt(0)
	s_mov_b32 s0, s33
	s_mov_b32 s33, s32
	s_or_saveexec_b64 s[2:3], -1
	scratch_store_dword off, v59, s33 offset:96 ; 4-byte Folded Spill
	s_mov_b64 exec, s[2:3]
	v_writelane_b32 v59, s0, 20
	s_addk_i32 s32, 0x70
	scratch_store_dword off, v40, s33 offset:40 ; 4-byte Folded Spill
	scratch_store_dword off, v41, s33 offset:36 ; 4-byte Folded Spill
	scratch_store_dword off, v42, s33 offset:32 ; 4-byte Folded Spill
	scratch_store_dword off, v43, s33 offset:28 ; 4-byte Folded Spill
	scratch_store_dword off, v44, s33 offset:24 ; 4-byte Folded Spill
	scratch_store_dword off, v45, s33 offset:20 ; 4-byte Folded Spill
	scratch_store_dword off, v46, s33 offset:16 ; 4-byte Folded Spill
	scratch_store_dword off, v47, s33 offset:12 ; 4-byte Folded Spill
	scratch_store_dword off, v56, s33 offset:8 ; 4-byte Folded Spill
	scratch_store_dword off, v57, s33 offset:4 ; 4-byte Folded Spill
	scratch_store_dword off, v58, s33       ; 4-byte Folded Spill
	v_writelane_b32 v59, s34, 0
	v_writelane_b32 v59, s35, 1
	;; [unrolled: 1-line block ×19, first 2 shown]
	s_nop 1
	v_writelane_b32 v59, s31, 19
	v_mov_b32_e32 v46, v3
	v_bitop3_b32 v3, v0, v1, v0 bitop3:0x30
	v_mov_b32_e32 v57, v6
	v_mov_b32_e32 v56, v5
	;; [unrolled: 1-line block ×3, first 2 shown]
	s_mov_b64 s[34:35], s[8:9]
	v_cmp_ne_u32_e32 vcc, 0, v3
	s_mov_b64 s[22:23], 0
	s_mov_b64 s[36:37], 0
	s_and_saveexec_b64 s[0:1], vcc
	s_xor_b64 s[24:25], exec, s[0:1]
                                        ; implicit-def: $vgpr65_vgpr66
	s_cbranch_execz .LBB2_2
; %bb.1:
	s_getpc_b64 s[0:1]
	s_add_u32 s0, s0, .str.27@rel32@lo+4
	s_addc_u32 s1, s1, .str.27@rel32@hi+12
	s_getpc_b64 s[2:3]
	s_add_u32 s2, s2, .str.16@rel32@lo+4
	s_addc_u32 s3, s3, .str.16@rel32@hi+12
	s_getpc_b64 s[4:5]
	s_add_u32 s4, s4, __PRETTY_FUNCTION__._ZN3sop14minatoIsop5RecEjjiPNS_3SopEP7VecsMemIjLi8192EE@rel32@lo+4
	s_addc_u32 s5, s5, __PRETTY_FUNCTION__._ZN3sop14minatoIsop5RecEjjiPNS_3SopEP7VecsMemIjLi8192EE@rel32@hi+12
	s_getpc_b64 s[6:7]
	s_add_u32 s6, s6, __assert_fail@rel32@lo+4
	s_addc_u32 s7, s7, __assert_fail@rel32@hi+12
	s_mov_b64 s[8:9], s[34:35]
	v_mov_b32_e32 v0, s0
	v_mov_b32_e32 v1, s1
	;; [unrolled: 1-line block ×7, first 2 shown]
	s_swappc_b64 s[30:31], s[6:7]
	s_mov_b64 s[36:37], exec
                                        ; implicit-def: $vgpr0
                                        ; implicit-def: $vgpr56
                                        ; implicit-def: $vgpr1
                                        ; implicit-def: $vgpr2
.LBB2_2:
	s_or_saveexec_b64 s[38:39], s[24:25]
	s_mov_b64 s[0:1], 0
                                        ; implicit-def: $vgpr64
                                        ; implicit-def: $vgpr53
	s_xor_b64 exec, exec, s[38:39]
	s_cbranch_execz .LBB2_7
; %bb.3:
	v_cmp_ne_u32_e32 vcc, 0, v0
	s_mov_b64 s[2:3], -1
	s_mov_b64 s[4:5], s[36:37]
                                        ; implicit-def: $vgpr64
                                        ; implicit-def: $vgpr53
	s_and_saveexec_b64 s[48:49], vcc
	s_cbranch_execz .LBB2_416
; %bb.4:
	v_cmp_ne_u32_e32 vcc, -1, v1
	s_mov_b64 s[22:23], 0
	s_mov_b64 s[24:25], s[36:37]
                                        ; implicit-def: $vgpr64
                                        ; implicit-def: $vgpr53
	s_and_saveexec_b64 s[0:1], vcc
	s_xor_b64 s[50:51], exec, s[0:1]
	s_cbranch_execz .LBB2_271
; %bb.5:
	v_cmp_lt_i32_e32 vcc, 0, v2
	s_mov_b64 s[0:1], -1
	s_mov_b64 s[24:25], 0
                                        ; implicit-def: $vgpr55
                                        ; implicit-def: $vgpr42
                                        ; implicit-def: $vgpr54
                                        ; implicit-def: $vgpr65
	s_and_saveexec_b64 s[16:17], vcc
	s_cbranch_execz .LBB2_46
; %bb.6:
	v_lshrrev_b32_e32 v3, 8, v0
	s_mov_b32 s6, 0xff00ff
	v_bitop3_b32 v3, v3, s6, v0 bitop3:0x48
	v_cmp_eq_u32_e32 vcc, 0, v3
	v_lshrrev_b32_e32 v3, 4, v0
	s_mov_b32 s8, 0xf0f0f0f
	v_bitop3_b32 v3, v3, s8, v0 bitop3:0x48
	v_cmp_eq_u32_e64 s[0:1], 0, v3
	v_lshrrev_b32_e32 v3, 2, v0
	s_mov_b32 s10, 0x33333333
	v_bitop3_b32 v3, v3, s10, v0 bitop3:0x48
	v_cmp_eq_u32_e64 s[2:3], 0, v3
	;; [unrolled: 4-line block ×3, first 2 shown]
	v_lshrrev_b32_e32 v3, 8, v1
	v_bitop3_b32 v3, v3, s6, v1 bitop3:0x48
	v_cmp_eq_u32_e64 s[6:7], 0, v3
	v_lshrrev_b32_e32 v3, 4, v1
	v_bitop3_b32 v3, v3, s8, v1 bitop3:0x48
	v_cmp_eq_u32_e64 s[8:9], 0, v3
	;; [unrolled: 3-line block ×3, first 2 shown]
	v_lshrrev_b32_e32 v3, 1, v1
	v_lshrrev_b32_e32 v65, 16, v0
	;; [unrolled: 1-line block ×3, first 2 shown]
	v_bitop3_b32 v3, v3, s12, v1 bitop3:0x48
	v_cmp_eq_u32_sdwa s[18:19], v0, v65 src0_sel:WORD_0 src1_sel:DWORD
	v_cmp_eq_u32_sdwa s[20:21], v1, v54 src0_sel:WORD_0 src1_sel:DWORD
	v_cmp_eq_u32_e64 s[12:13], 0, v3
                                        ; implicit-def: $sgpr22_sgpr23
	s_branch .LBB2_11
.LBB2_7:
	s_or_b64 exec, exec, s[38:39]
	s_and_saveexec_b64 s[2:3], s[36:37]
	s_xor_b64 s[2:3], exec, s[2:3]
	s_cbranch_execz .LBB2_417
.LBB2_8:
	; divergent unreachable
	s_or_b64 exec, exec, s[2:3]
	s_and_saveexec_b64 s[2:3], s[22:23]
	s_cbranch_execnz .LBB2_418
	s_branch .LBB2_419
.LBB2_9:                                ;   in Loop: Header=BB2_11 Depth=1
	s_or_b64 exec, exec, s[42:43]
	s_orn2_b64 s[40:41], s[40:41], exec
	s_orn2_b64 s[14:15], s[14:15], exec
	v_mov_b32_e32 v42, v2
.LBB2_10:                               ;   in Loop: Header=BB2_11 Depth=1
	s_or_b64 exec, exec, s[26:27]
	s_xor_b64 s[26:27], s[40:41], -1
	s_and_b64 s[14:15], exec, s[14:15]
	s_or_b64 s[24:25], s[14:15], s[24:25]
	s_andn2_b64 s[14:15], s[22:23], exec
	s_and_b64 s[22:23], s[26:27], exec
	s_or_b64 s[22:23], s[14:15], s[22:23]
	s_andn2_b64 exec, exec, s[24:25]
	s_cbranch_execz .LBB2_215
.LBB2_11:                               ; =>This Inner Loop Header: Depth=1
	v_mov_b32_e32 v3, v2
	v_add_u32_e32 v2, -1, v3
	v_cmp_lt_i32_e64 s[14:15], 3, v3
	s_mov_b64 s[28:29], 0
                                        ; implicit-def: $vgpr42
                                        ; implicit-def: $vgpr55
	s_and_saveexec_b64 s[26:27], s[14:15]
	s_xor_b64 s[26:27], exec, s[26:27]
	s_cbranch_execz .LBB2_17
; %bb.12:                               ;   in Loop: Header=BB2_11 Depth=1
	v_cmp_lt_i32_e64 s[14:15], 4, v3
	s_and_saveexec_b64 s[40:41], s[14:15]
	s_xor_b64 s[14:15], exec, s[40:41]
; %bb.13:                               ;   in Loop: Header=BB2_11 Depth=1
	s_and_b64 s[28:29], s[18:19], exec
; %bb.14:                               ;   in Loop: Header=BB2_11 Depth=1
	s_or_saveexec_b64 s[14:15], s[14:15]
	v_mov_b32_e32 v55, 5
	v_mov_b32_e32 v42, 4
	s_xor_b64 exec, exec, s[14:15]
; %bb.15:                               ;   in Loop: Header=BB2_11 Depth=1
	s_andn2_b64 s[28:29], s[28:29], exec
	s_and_b64 s[40:41], vcc, exec
	v_mov_b32_e32 v55, 4
	s_or_b64 s[28:29], s[28:29], s[40:41]
	v_mov_b32_e32 v42, v2
; %bb.16:                               ;   in Loop: Header=BB2_11 Depth=1
	s_or_b64 exec, exec, s[14:15]
	s_and_b64 s[28:29], s[28:29], exec
.LBB2_17:                               ;   in Loop: Header=BB2_11 Depth=1
	s_andn2_saveexec_b64 s[26:27], s[26:27]
	s_cbranch_execz .LBB2_27
; %bb.18:                               ;   in Loop: Header=BB2_11 Depth=1
	v_cmp_lt_i32_e64 s[14:15], 2, v3
	s_mov_b64 s[40:41], s[28:29]
	s_and_saveexec_b64 s[42:43], s[14:15]
	s_xor_b64 s[14:15], exec, s[42:43]
; %bb.19:                               ;   in Loop: Header=BB2_11 Depth=1
	s_andn2_b64 s[40:41], s[28:29], exec
	s_and_b64 s[42:43], s[0:1], exec
	s_or_b64 s[40:41], s[40:41], s[42:43]
; %bb.20:                               ;   in Loop: Header=BB2_11 Depth=1
	s_or_saveexec_b64 s[42:43], s[14:15]
	v_mov_b32_e32 v55, 3
	s_xor_b64 exec, exec, s[42:43]
	s_cbranch_execz .LBB2_26
; %bb.21:                               ;   in Loop: Header=BB2_11 Depth=1
	v_cmp_ne_u32_e64 s[14:15], 2, v3
	s_mov_b64 s[44:45], s[40:41]
	s_and_saveexec_b64 s[46:47], s[14:15]
	s_xor_b64 s[14:15], exec, s[46:47]
; %bb.22:                               ;   in Loop: Header=BB2_11 Depth=1
	s_andn2_b64 s[44:45], s[40:41], exec
	s_and_b64 s[46:47], s[4:5], exec
	s_or_b64 s[44:45], s[44:45], s[46:47]
; %bb.23:                               ;   in Loop: Header=BB2_11 Depth=1
	s_or_saveexec_b64 s[14:15], s[14:15]
	v_mov_b32_e32 v55, 1
	s_xor_b64 exec, exec, s[14:15]
; %bb.24:                               ;   in Loop: Header=BB2_11 Depth=1
	s_andn2_b64 s[44:45], s[44:45], exec
	s_and_b64 s[46:47], s[2:3], exec
	v_mov_b32_e32 v55, 2
	s_or_b64 s[44:45], s[44:45], s[46:47]
; %bb.25:                               ;   in Loop: Header=BB2_11 Depth=1
	s_or_b64 exec, exec, s[14:15]
	s_andn2_b64 s[14:15], s[40:41], exec
	s_and_b64 s[40:41], s[44:45], exec
	s_or_b64 s[40:41], s[14:15], s[40:41]
.LBB2_26:                               ;   in Loop: Header=BB2_11 Depth=1
	s_or_b64 exec, exec, s[42:43]
	s_andn2_b64 s[14:15], s[28:29], exec
	s_and_b64 s[28:29], s[40:41], exec
	s_or_b64 s[28:29], s[14:15], s[28:29]
	v_mov_b32_e32 v42, v2
.LBB2_27:                               ;   in Loop: Header=BB2_11 Depth=1
	s_or_b64 exec, exec, s[26:27]
	s_mov_b64 s[14:15], -1
	s_mov_b64 s[40:41], -1
	s_and_saveexec_b64 s[26:27], s[28:29]
	s_cbranch_execz .LBB2_10
; %bb.28:                               ;   in Loop: Header=BB2_11 Depth=1
	v_cmp_lt_i32_e64 s[14:15], 3, v3
	s_mov_b64 s[28:29], 0
                                        ; implicit-def: $vgpr55
	s_and_saveexec_b64 s[40:41], s[14:15]
	s_xor_b64 s[40:41], exec, s[40:41]
	s_cbranch_execz .LBB2_34
; %bb.29:                               ;   in Loop: Header=BB2_11 Depth=1
	v_cmp_lt_i32_e64 s[14:15], 4, v3
	s_and_saveexec_b64 s[42:43], s[14:15]
	s_xor_b64 s[14:15], exec, s[42:43]
; %bb.30:                               ;   in Loop: Header=BB2_11 Depth=1
	s_and_b64 s[28:29], s[20:21], exec
; %bb.31:                               ;   in Loop: Header=BB2_11 Depth=1
	s_or_saveexec_b64 s[14:15], s[14:15]
	v_mov_b32_e32 v55, 5
	s_xor_b64 exec, exec, s[14:15]
; %bb.32:                               ;   in Loop: Header=BB2_11 Depth=1
	s_andn2_b64 s[28:29], s[28:29], exec
	s_and_b64 s[42:43], s[6:7], exec
	v_mov_b32_e32 v55, 4
	s_or_b64 s[28:29], s[28:29], s[42:43]
; %bb.33:                               ;   in Loop: Header=BB2_11 Depth=1
	s_or_b64 exec, exec, s[14:15]
	s_and_b64 s[28:29], s[28:29], exec
.LBB2_34:                               ;   in Loop: Header=BB2_11 Depth=1
	s_andn2_saveexec_b64 s[40:41], s[40:41]
	s_cbranch_execz .LBB2_44
; %bb.35:                               ;   in Loop: Header=BB2_11 Depth=1
	v_cmp_lt_i32_e64 s[14:15], 2, v3
	s_mov_b64 s[42:43], s[28:29]
	s_and_saveexec_b64 s[44:45], s[14:15]
	s_xor_b64 s[14:15], exec, s[44:45]
; %bb.36:                               ;   in Loop: Header=BB2_11 Depth=1
	s_andn2_b64 s[42:43], s[28:29], exec
	s_and_b64 s[44:45], s[8:9], exec
	s_or_b64 s[42:43], s[42:43], s[44:45]
; %bb.37:                               ;   in Loop: Header=BB2_11 Depth=1
	s_or_saveexec_b64 s[44:45], s[14:15]
	v_mov_b32_e32 v55, 3
	s_xor_b64 exec, exec, s[44:45]
	s_cbranch_execz .LBB2_43
; %bb.38:                               ;   in Loop: Header=BB2_11 Depth=1
	v_cmp_ne_u32_e64 s[14:15], 2, v3
	s_mov_b64 s[46:47], s[42:43]
	s_and_saveexec_b64 s[56:57], s[14:15]
	s_xor_b64 s[14:15], exec, s[56:57]
; %bb.39:                               ;   in Loop: Header=BB2_11 Depth=1
	s_andn2_b64 s[46:47], s[42:43], exec
	s_and_b64 s[56:57], s[12:13], exec
	s_or_b64 s[46:47], s[46:47], s[56:57]
; %bb.40:                               ;   in Loop: Header=BB2_11 Depth=1
	s_or_saveexec_b64 s[14:15], s[14:15]
	v_mov_b32_e32 v55, 1
	s_xor_b64 exec, exec, s[14:15]
; %bb.41:                               ;   in Loop: Header=BB2_11 Depth=1
	s_andn2_b64 s[46:47], s[46:47], exec
	s_and_b64 s[56:57], s[10:11], exec
	v_mov_b32_e32 v55, 2
	s_or_b64 s[46:47], s[46:47], s[56:57]
; %bb.42:                               ;   in Loop: Header=BB2_11 Depth=1
	s_or_b64 exec, exec, s[14:15]
	s_andn2_b64 s[14:15], s[42:43], exec
	s_and_b64 s[42:43], s[46:47], exec
	s_or_b64 s[42:43], s[14:15], s[42:43]
.LBB2_43:                               ;   in Loop: Header=BB2_11 Depth=1
	s_or_b64 exec, exec, s[44:45]
	s_andn2_b64 s[14:15], s[28:29], exec
	s_and_b64 s[28:29], s[42:43], exec
	s_or_b64 s[28:29], s[14:15], s[28:29]
.LBB2_44:                               ;   in Loop: Header=BB2_11 Depth=1
	s_or_b64 exec, exec, s[40:41]
	s_mov_b64 s[14:15], -1
	s_mov_b64 s[40:41], -1
	s_and_saveexec_b64 s[42:43], s[28:29]
	s_cbranch_execz .LBB2_9
; %bb.45:                               ;   in Loop: Header=BB2_11 Depth=1
	v_cmp_gt_u32_e64 s[14:15], 2, v3
	s_xor_b64 s[40:41], exec, -1
	s_orn2_b64 s[14:15], s[14:15], exec
	s_branch .LBB2_9
.LBB2_46:
	s_or_b64 exec, exec, s[16:17]
	s_mov_b64 s[52:53], s[36:37]
	s_and_saveexec_b64 s[22:23], s[0:1]
	s_cbranch_execz .LBB2_48
.LBB2_47:
	s_getpc_b64 s[0:1]
	s_add_u32 s0, s0, .str.21@rel32@lo+4
	s_addc_u32 s1, s1, .str.21@rel32@hi+12
	s_getpc_b64 s[2:3]
	s_add_u32 s2, s2, .str.16@rel32@lo+4
	s_addc_u32 s3, s3, .str.16@rel32@hi+12
	s_getpc_b64 s[4:5]
	s_add_u32 s4, s4, __PRETTY_FUNCTION__._ZN3sop14minatoIsop5RecEjjiPNS_3SopEP7VecsMemIjLi8192EE@rel32@lo+4
	s_addc_u32 s5, s5, __PRETTY_FUNCTION__._ZN3sop14minatoIsop5RecEjjiPNS_3SopEP7VecsMemIjLi8192EE@rel32@hi+12
	s_getpc_b64 s[6:7]
	s_add_u32 s6, s6, __assert_fail@rel32@lo+4
	s_addc_u32 s7, s7, __assert_fail@rel32@hi+12
	s_mov_b64 s[8:9], s[34:35]
	v_mov_b32_e32 v53, v0
	v_mov_b32_e32 v0, s0
	;; [unrolled: 1-line block ×9, first 2 shown]
	s_swappc_b64 s[30:31], s[6:7]
	v_mov_b32_e32 v1, v64
	v_mov_b32_e32 v0, v53
	s_or_b64 s[52:53], s[36:37], exec
	s_andn2_b64 s[24:25], s[24:25], exec
.LBB2_48:
	s_or_b64 exec, exec, s[22:23]
	s_mov_b64 s[0:1], 0
                                        ; implicit-def: $vgpr64
                                        ; implicit-def: $vgpr53
	s_and_saveexec_b64 s[54:55], s[24:25]
	s_cbranch_execz .LBB2_270
; %bb.49:
	v_cmp_lt_i32_e32 vcc, 3, v55
                                        ; implicit-def: $vgpr3
                                        ; implicit-def: $vgpr2
	s_and_saveexec_b64 s[0:1], vcc
	s_xor_b64 s[0:1], exec, s[0:1]
	s_cbranch_execz .LBB2_53
; %bb.50:
	v_cmp_gt_i32_e32 vcc, 5, v55
	v_mov_b32_e32 v2, 0xffff
	v_mov_b32_e32 v3, 0x10001
	s_and_saveexec_b64 s[2:3], vcc
; %bb.51:
	v_mov_b32_e32 v2, 0xff00ff
	v_mov_b32_e32 v3, 0x101
; %bb.52:
	s_or_b64 exec, exec, s[2:3]
.LBB2_53:
	s_andn2_saveexec_b64 s[0:1], s[0:1]
	s_cbranch_execz .LBB2_59
; %bb.54:
	v_cmp_lt_i32_e32 vcc, 2, v55
	s_and_saveexec_b64 s[2:3], vcc
	s_xor_b64 s[2:3], exec, s[2:3]
	s_or_saveexec_b64 s[2:3], s[2:3]
	v_mov_b32_e32 v2, 0xf0f0f0f
	v_mov_b32_e32 v3, 17
	s_xor_b64 exec, exec, s[2:3]
	s_cbranch_execz .LBB2_58
; %bb.55:
	v_cmp_ne_u32_e32 vcc, 2, v55
	s_and_saveexec_b64 s[4:5], vcc
	s_xor_b64 s[4:5], exec, s[4:5]
	s_or_saveexec_b64 s[4:5], s[4:5]
	v_mov_b32_e32 v2, 0x55555555
	v_mov_b32_e32 v3, 3
	s_xor_b64 exec, exec, s[4:5]
; %bb.56:
	v_mov_b32_e32 v2, 0x33333333
	v_mov_b32_e32 v3, 5
; %bb.57:
	s_or_b64 exec, exec, s[4:5]
.LBB2_58:
	s_or_b64 exec, exec, s[2:3]
.LBB2_59:
	s_or_b64 exec, exec, s[0:1]
	v_cmp_lt_i32_e32 vcc, 3, v55
                                        ; implicit-def: $vgpr45
	s_and_saveexec_b64 s[0:1], vcc
	s_xor_b64 s[0:1], exec, s[0:1]
	s_cbranch_execz .LBB2_65
; %bb.60:
	v_cmp_lt_i32_e32 vcc, 4, v55
                                        ; implicit-def: $vgpr45
	s_and_saveexec_b64 s[2:3], vcc
	s_xor_b64 s[2:3], exec, s[2:3]
; %bb.61:
	s_mov_b32 s4, 0xffff0000
	v_and_or_b32 v45, v0, s4, v65
; %bb.62:
	s_andn2_saveexec_b64 s[2:3], s[2:3]
; %bb.63:
	v_and_b32_e32 v4, 0xff00ff00, v0
	v_lshrrev_b32_e32 v5, 8, v4
	v_or_b32_e32 v45, v5, v4
; %bb.64:
	s_or_b64 exec, exec, s[2:3]
.LBB2_65:
	s_andn2_saveexec_b64 s[0:1], s[0:1]
	s_cbranch_execz .LBB2_75
; %bb.66:
	v_cmp_lt_i32_e32 vcc, 2, v55
                                        ; implicit-def: $vgpr45
	s_and_saveexec_b64 s[2:3], vcc
	s_xor_b64 s[2:3], exec, s[2:3]
; %bb.67:
	v_and_b32_e32 v4, 0xf0f0f0f0, v0
	v_lshrrev_b32_e32 v5, 4, v4
	v_or_b32_e32 v45, v5, v4
; %bb.68:
	s_andn2_saveexec_b64 s[2:3], s[2:3]
	s_cbranch_execz .LBB2_74
; %bb.69:
	v_cmp_ne_u32_e32 vcc, 2, v55
                                        ; implicit-def: $vgpr45
	s_and_saveexec_b64 s[4:5], vcc
	s_xor_b64 s[4:5], exec, s[4:5]
; %bb.70:
	v_and_b32_e32 v4, 0xaaaaaaaa, v0
	v_lshrrev_b32_e32 v5, 1, v4
	v_or_b32_e32 v45, v5, v4
; %bb.71:
	s_andn2_saveexec_b64 s[4:5], s[4:5]
; %bb.72:
	v_and_b32_e32 v4, 0xcccccccc, v0
	v_lshrrev_b32_e32 v5, 2, v4
	v_or_b32_e32 v45, v5, v4
; %bb.73:
	s_or_b64 exec, exec, s[4:5]
.LBB2_74:
	s_or_b64 exec, exec, s[2:3]
.LBB2_75:
	s_or_b64 exec, exec, s[0:1]
	v_cmp_lt_i32_e32 vcc, 3, v55
                                        ; implicit-def: $vgpr5
                                        ; implicit-def: $vgpr4
	s_and_saveexec_b64 s[0:1], vcc
	s_xor_b64 s[0:1], exec, s[0:1]
	s_cbranch_execz .LBB2_79
; %bb.76:
	v_cmp_gt_i32_e32 vcc, 5, v55
	v_mov_b32_e32 v4, 0xffff
	v_mov_b32_e32 v5, 0x10001
	s_and_saveexec_b64 s[2:3], vcc
; %bb.77:
	v_mov_b32_e32 v4, 0xff00ff
	v_mov_b32_e32 v5, 0x101
; %bb.78:
	s_or_b64 exec, exec, s[2:3]
.LBB2_79:
	s_andn2_saveexec_b64 s[0:1], s[0:1]
	s_cbranch_execz .LBB2_85
; %bb.80:
	v_cmp_lt_i32_e32 vcc, 2, v55
	s_and_saveexec_b64 s[2:3], vcc
	s_xor_b64 s[2:3], exec, s[2:3]
	s_or_saveexec_b64 s[2:3], s[2:3]
	v_mov_b32_e32 v4, 0xf0f0f0f
	v_mov_b32_e32 v5, 17
	s_xor_b64 exec, exec, s[2:3]
	s_cbranch_execz .LBB2_84
; %bb.81:
	v_cmp_ne_u32_e32 vcc, 2, v55
	s_and_saveexec_b64 s[4:5], vcc
	s_xor_b64 s[4:5], exec, s[4:5]
	s_or_saveexec_b64 s[4:5], s[4:5]
	v_mov_b32_e32 v4, 0x55555555
	v_mov_b32_e32 v5, 3
	s_xor_b64 exec, exec, s[4:5]
; %bb.82:
	v_mov_b32_e32 v4, 0x33333333
	v_mov_b32_e32 v5, 5
; %bb.83:
	s_or_b64 exec, exec, s[4:5]
.LBB2_84:
	s_or_b64 exec, exec, s[2:3]
.LBB2_85:
	s_or_b64 exec, exec, s[0:1]
	v_cmp_lt_i32_e32 vcc, 3, v55
                                        ; implicit-def: $vgpr40
	s_and_saveexec_b64 s[0:1], vcc
	s_xor_b64 s[0:1], exec, s[0:1]
	s_cbranch_execz .LBB2_91
; %bb.86:
	v_cmp_lt_i32_e32 vcc, 4, v55
                                        ; implicit-def: $vgpr40
	s_and_saveexec_b64 s[2:3], vcc
	s_xor_b64 s[2:3], exec, s[2:3]
; %bb.87:
	s_mov_b32 s4, 0xffff0000
	v_and_or_b32 v40, v1, s4, v54
; %bb.88:
	s_andn2_saveexec_b64 s[2:3], s[2:3]
; %bb.89:
	v_and_b32_e32 v6, 0xff00ff00, v1
	v_lshrrev_b32_e32 v7, 8, v6
	v_or_b32_e32 v40, v7, v6
; %bb.90:
	s_or_b64 exec, exec, s[2:3]
                                        ; implicit-def: $vgpr55
.LBB2_91:
	s_andn2_saveexec_b64 s[0:1], s[0:1]
	s_cbranch_execz .LBB2_101
; %bb.92:
	v_cmp_lt_i32_e32 vcc, 2, v55
                                        ; implicit-def: $vgpr40
	s_and_saveexec_b64 s[2:3], vcc
	s_xor_b64 s[2:3], exec, s[2:3]
; %bb.93:
	v_and_b32_e32 v6, 0xf0f0f0f0, v1
	v_lshrrev_b32_e32 v7, 4, v6
	v_or_b32_e32 v40, v7, v6
                                        ; implicit-def: $vgpr55
; %bb.94:
	s_andn2_saveexec_b64 s[2:3], s[2:3]
	s_cbranch_execz .LBB2_100
; %bb.95:
	v_cmp_ne_u32_e32 vcc, 2, v55
                                        ; implicit-def: $vgpr40
	s_and_saveexec_b64 s[4:5], vcc
	s_xor_b64 s[4:5], exec, s[4:5]
; %bb.96:
	v_and_b32_e32 v6, 0xaaaaaaaa, v1
	v_lshrrev_b32_e32 v7, 1, v6
	v_or_b32_e32 v40, v7, v6
; %bb.97:
	s_andn2_saveexec_b64 s[4:5], s[4:5]
; %bb.98:
	v_and_b32_e32 v6, 0xcccccccc, v1
	v_lshrrev_b32_e32 v7, 2, v6
	v_or_b32_e32 v40, v7, v6
; %bb.99:
	s_or_b64 exec, exec, s[4:5]
.LBB2_100:
	s_or_b64 exec, exec, s[2:3]
.LBB2_101:
	s_or_b64 exec, exec, s[0:1]
	v_and_b32_e32 v1, v4, v1
	v_and_b32_e32 v0, v2, v0
	s_getpc_b64 s[66:67]
	s_add_u32 s66, s66, _ZN3sop14minatoIsop5RecEjjiPNS_3SopEP7VecsMemIjLi8192EE@rel32@lo+4
	s_addc_u32 s67, s67, _ZN3sop14minatoIsop5RecEjjiPNS_3SopEP7VecsMemIjLi8192EE@rel32@hi+12
	s_mov_b64 s[64:65], src_private_base
	v_mul_lo_u32 v43, v1, v5
	v_mul_lo_u32 v58, v0, v3
	s_add_i32 s0, s33, 48
	v_bitop3_b32 v0, v58, v40, v58 bitop3:0x30
	s_mov_b64 s[8:9], s[34:35]
	v_mov_b32_e32 v1, v43
	v_mov_b32_e32 v2, v42
	;; [unrolled: 1-line block ×6, first 2 shown]
	s_swappc_b64 s[30:31], s[66:67]
	s_add_i32 s0, s33, 64
	v_mov_b32_e32 v41, v0
	v_bitop3_b32 v0, v45, v43, v45 bitop3:0x30
	s_mov_b64 s[8:9], s[34:35]
	v_mov_b32_e32 v1, v40
	v_mov_b32_e32 v2, v42
	;; [unrolled: 1-line block ×6, first 2 shown]
	s_swappc_b64 s[30:31], s[66:67]
	v_mov_b32_e32 v44, v0
	v_bitop3_b32 v0, v58, v41, v58 bitop3:0x30
	s_add_i32 s0, s33, 0x50
	v_bitop3_b32 v0, v45, v0, v44 bitop3:0xdc
	v_and_b32_e32 v1, v43, v40
	s_mov_b64 s[8:9], s[34:35]
	v_mov_b32_e32 v2, v42
	v_mov_b32_e32 v3, s0
	;; [unrolled: 1-line block ×5, first 2 shown]
	s_swappc_b64 s[30:31], s[66:67]
	scratch_load_dwordx2 v[68:69], off, s33 offset:48
	scratch_load_dwordx2 v[64:65], off, s33 offset:64
	;; [unrolled: 1-line block ×3, first 2 shown]
	s_mov_b64 s[0:1], -1
	v_mov_b64_e32 v[66:67], 0
	s_mov_b64 s[26:27], s[52:53]
	s_waitcnt vmcnt(1)
	v_add_u32_e32 v1, v65, v69
	v_add_u32_e32 v2, v1, v68
	s_waitcnt vmcnt(0)
	v_add_u32_e32 v3, v1, v55
	v_add3_u32 v2, v2, v64, v54
	v_cmp_lt_i32_e32 vcc, 0, v3
	flat_store_dwordx2 v[46:47], v[2:3]
	s_and_saveexec_b64 s[22:23], vcc
	s_cbranch_execz .LBB2_247
; %bb.102:
	flat_load_dword v1, v[56:57]
	s_movk_i32 s0, 0x2001
	s_mov_b64 s[24:25], 0
	v_mov_b64_e32 v[66:67], 0
	s_waitcnt vmcnt(0) lgkmcnt(0)
	v_add_u32_e32 v4, v1, v3
	v_cmp_gt_i32_e32 vcc, s0, v4
	s_and_saveexec_b64 s[0:1], vcc
	s_xor_b64 s[0:1], exec, s[0:1]
	s_cbranch_execz .LBB2_104
; %bb.103:
	v_ashrrev_i32_e32 v5, 31, v4
	v_mov_b32_e32 v7, 0
	v_mov_b32_e32 v6, v3
	flat_store_dword v[56:57], v4
	v_lshl_add_u64 v[4:5], v[4:5], 2, v[56:57]
	v_lshlrev_b64 v[2:3], 2, v[6:7]
	v_sub_co_u32_e32 v2, vcc, v4, v2
	s_mov_b64 s[24:25], exec
	s_nop 0
	v_subb_co_u32_e32 v3, vcc, v5, v3, vcc
	v_lshl_add_u64 v[66:67], v[2:3], 0, 4
.LBB2_104:
	s_or_saveexec_b64 s[26:27], s[0:1]
	s_mov_b64 s[0:1], s[52:53]
	s_xor_b64 exec, exec, s[26:27]
	s_cbranch_execz .LBB2_246
; %bb.105:
	s_load_dwordx2 s[2:3], s[34:35], 0x50
	v_mbcnt_lo_u32_b32 v1, -1, 0
	v_mbcnt_hi_u32_b32 v1, -1, v1
	v_mov_b64_e32 v[6:7], 0
	v_readfirstlane_b32 s0, v1
	s_nop 1
	v_cmp_eq_u32_e64 s[0:1], s0, v1
	s_and_saveexec_b64 s[4:5], s[0:1]
	s_cbranch_execz .LBB2_111
; %bb.106:
	v_mov_b32_e32 v2, 0
	s_waitcnt lgkmcnt(0)
	global_load_dwordx2 v[8:9], v2, s[2:3] offset:24 sc0 sc1
	s_waitcnt vmcnt(0)
	buffer_inv sc0 sc1
	global_load_dwordx2 v[4:5], v2, s[2:3] offset:40
	global_load_dwordx2 v[6:7], v2, s[2:3]
	s_waitcnt vmcnt(1)
	v_and_b32_e32 v3, v4, v8
	v_and_b32_e32 v4, v5, v9
	v_mul_lo_u32 v4, v4, 24
	v_mul_hi_u32 v5, v3, 24
	v_add_u32_e32 v5, v5, v4
	v_mul_lo_u32 v4, v3, 24
	s_waitcnt vmcnt(0)
	v_lshl_add_u64 v[4:5], v[6:7], 0, v[4:5]
	global_load_dwordx2 v[6:7], v[4:5], off sc0 sc1
	s_waitcnt vmcnt(0)
	global_atomic_cmpswap_x2 v[6:7], v2, v[6:9], s[2:3] offset:24 sc0 sc1
	s_waitcnt vmcnt(0)
	buffer_inv sc0 sc1
	v_cmp_ne_u64_e32 vcc, v[6:7], v[8:9]
	s_and_saveexec_b64 s[6:7], vcc
	s_cbranch_execz .LBB2_110
; %bb.107:
	s_mov_b64 s[8:9], 0
.LBB2_108:                              ; =>This Inner Loop Header: Depth=1
	s_sleep 1
	global_load_dwordx2 v[4:5], v2, s[2:3] offset:40
	global_load_dwordx2 v[10:11], v2, s[2:3]
	v_mov_b64_e32 v[8:9], v[6:7]
	s_waitcnt vmcnt(1)
	v_and_b32_e32 v4, v4, v8
	v_and_b32_e32 v3, v5, v9
	s_waitcnt vmcnt(0)
	v_mad_u64_u32 v[4:5], s[10:11], v4, 24, v[10:11]
	v_mov_b32_e32 v6, v5
	v_mad_u64_u32 v[6:7], s[10:11], v3, 24, v[6:7]
	v_mov_b32_e32 v5, v6
	global_load_dwordx2 v[6:7], v[4:5], off sc0 sc1
	s_waitcnt vmcnt(0)
	global_atomic_cmpswap_x2 v[6:7], v2, v[6:9], s[2:3] offset:24 sc0 sc1
	s_waitcnt vmcnt(0)
	buffer_inv sc0 sc1
	v_cmp_eq_u64_e32 vcc, v[6:7], v[8:9]
	s_or_b64 s[8:9], vcc, s[8:9]
	s_andn2_b64 exec, exec, s[8:9]
	s_cbranch_execnz .LBB2_108
; %bb.109:
	s_or_b64 exec, exec, s[8:9]
.LBB2_110:
	s_or_b64 exec, exec, s[6:7]
.LBB2_111:
	s_or_b64 exec, exec, s[4:5]
	v_mov_b32_e32 v29, 0
	s_waitcnt lgkmcnt(0)
	global_load_dwordx2 v[8:9], v29, s[2:3] offset:40
	global_load_dwordx4 v[2:5], v29, s[2:3]
	v_readfirstlane_b32 s5, v7
	v_readfirstlane_b32 s4, v6
	s_mov_b64 s[6:7], exec
	s_waitcnt vmcnt(0)
	v_readfirstlane_b32 s8, v8
	v_readfirstlane_b32 s9, v9
	s_and_b64 s[8:9], s[8:9], s[4:5]
	s_mul_i32 s10, s9, 24
	s_mul_hi_u32 s11, s8, 24
	s_add_i32 s11, s11, s10
	s_mul_i32 s10, s8, 24
	v_lshl_add_u64 v[6:7], v[2:3], 0, s[10:11]
	s_and_saveexec_b64 s[10:11], s[0:1]
	s_cbranch_execz .LBB2_113
; %bb.112:
	v_mov_b64_e32 v[8:9], s[6:7]
	v_mov_b32_e32 v10, 2
	v_mov_b32_e32 v11, 1
	global_store_dwordx4 v[6:7], v[8:11], off offset:8
.LBB2_113:
	s_or_b64 exec, exec, s[10:11]
	s_lshl_b64 s[6:7], s[8:9], 12
	v_lshl_add_u64 v[8:9], v[4:5], 0, s[6:7]
	s_mov_b32 s8, 0
	v_lshlrev_b32_e32 v28, 6, v1
	v_mov_b32_e32 v10, 33
	v_mov_b32_e32 v11, v29
	;; [unrolled: 1-line block ×4, first 2 shown]
	v_readfirstlane_b32 s6, v8
	v_readfirstlane_b32 s7, v9
	s_mov_b32 s10, s8
	s_mov_b32 s11, s8
	s_mov_b32 s9, s8
	s_nop 1
	global_store_dwordx4 v28, v[10:13], s[6:7]
	s_nop 1
	v_mov_b64_e32 v[12:13], s[10:11]
	v_mov_b64_e32 v[10:11], s[8:9]
	global_store_dwordx4 v28, v[10:13], s[6:7] offset:16
	global_store_dwordx4 v28, v[10:13], s[6:7] offset:32
	;; [unrolled: 1-line block ×3, first 2 shown]
	s_and_saveexec_b64 s[6:7], s[0:1]
	s_cbranch_execz .LBB2_121
; %bb.114:
	v_mov_b32_e32 v12, 0
	global_load_dwordx2 v[16:17], v12, s[2:3] offset:32 sc0 sc1
	global_load_dwordx2 v[4:5], v12, s[2:3] offset:40
	v_mov_b32_e32 v14, s4
	v_mov_b32_e32 v15, s5
	s_waitcnt vmcnt(0)
	v_and_b32_e32 v4, s4, v4
	v_and_b32_e32 v5, s5, v5
	v_mul_lo_u32 v5, v5, 24
	v_mul_hi_u32 v10, v4, 24
	v_mul_lo_u32 v4, v4, 24
	v_add_u32_e32 v5, v10, v5
	v_lshl_add_u64 v[10:11], v[2:3], 0, v[4:5]
	global_store_dwordx2 v[10:11], v[16:17], off
	buffer_wbl2 sc0 sc1
	s_waitcnt vmcnt(0)
	global_atomic_cmpswap_x2 v[4:5], v12, v[14:17], s[2:3] offset:32 sc0 sc1
	s_waitcnt vmcnt(0)
	v_cmp_ne_u64_e32 vcc, v[4:5], v[16:17]
	s_and_saveexec_b64 s[8:9], vcc
	s_cbranch_execz .LBB2_117
; %bb.115:
	s_mov_b64 s[10:11], 0
.LBB2_116:                              ; =>This Inner Loop Header: Depth=1
	s_sleep 1
	global_store_dwordx2 v[10:11], v[4:5], off
	v_mov_b32_e32 v2, s4
	v_mov_b32_e32 v3, s5
	buffer_wbl2 sc0 sc1
	s_waitcnt vmcnt(0)
	global_atomic_cmpswap_x2 v[2:3], v12, v[2:5], s[2:3] offset:32 sc0 sc1
	s_waitcnt vmcnt(0)
	v_cmp_eq_u64_e32 vcc, v[2:3], v[4:5]
	s_or_b64 s[10:11], vcc, s[10:11]
	v_mov_b64_e32 v[4:5], v[2:3]
	s_andn2_b64 exec, exec, s[10:11]
	s_cbranch_execnz .LBB2_116
.LBB2_117:
	s_or_b64 exec, exec, s[8:9]
	v_mov_b32_e32 v5, 0
	global_load_dwordx2 v[2:3], v5, s[2:3] offset:16
	s_mov_b64 s[8:9], exec
	v_mbcnt_lo_u32_b32 v4, s8, 0
	v_mbcnt_hi_u32_b32 v4, s9, v4
	v_cmp_eq_u32_e32 vcc, 0, v4
	s_and_saveexec_b64 s[10:11], vcc
	s_cbranch_execz .LBB2_119
; %bb.118:
	s_bcnt1_i32_b64 s8, s[8:9]
	v_mov_b32_e32 v4, s8
	buffer_wbl2 sc0 sc1
	s_waitcnt vmcnt(0)
	global_atomic_add_x2 v[2:3], v[4:5], off offset:8 sc1
.LBB2_119:
	s_or_b64 exec, exec, s[10:11]
	s_waitcnt vmcnt(0)
	global_load_dwordx2 v[4:5], v[2:3], off offset:16
	s_waitcnt vmcnt(0)
	v_cmp_eq_u64_e32 vcc, 0, v[4:5]
	s_cbranch_vccnz .LBB2_121
; %bb.120:
	global_load_dword v2, v[2:3], off offset:24
	v_mov_b32_e32 v3, 0
	s_waitcnt vmcnt(0)
	v_readfirstlane_b32 s8, v2
	s_and_b32 m0, s8, 0xffffff
	buffer_wbl2 sc0 sc1
	global_store_dwordx2 v[4:5], v[2:3], off sc0 sc1
	s_sendmsg sendmsg(MSG_INTERRUPT)
.LBB2_121:
	s_or_b64 exec, exec, s[6:7]
	v_lshl_add_u64 v[2:3], v[8:9], 0, v[28:29]
	s_branch .LBB2_123
.LBB2_122:
	s_branch .LBB2_127
.LBB2_123:                              ; =>This Inner Loop Header: Depth=1
	v_mov_b32_e32 v4, 1
	s_and_saveexec_b64 s[6:7], s[0:1]
	s_cbranch_execz .LBB2_125
; %bb.124:                              ;   in Loop: Header=BB2_123 Depth=1
	global_load_dword v4, v[6:7], off offset:20 sc0 sc1
	s_waitcnt vmcnt(0)
	buffer_inv sc0 sc1
	v_and_b32_e32 v4, 1, v4
.LBB2_125:                              ;   in Loop: Header=BB2_123 Depth=1
	s_or_b64 exec, exec, s[6:7]
	v_readfirstlane_b32 s6, v4
	s_cmp_eq_u32 s6, 0
	s_cbranch_scc1 .LBB2_122
; %bb.126:                              ;   in Loop: Header=BB2_123 Depth=1
	s_sleep 1
	s_cbranch_execnz .LBB2_123
.LBB2_127:
	global_load_dwordx2 v[2:3], v[2:3], off
	s_and_saveexec_b64 s[6:7], s[0:1]
	s_cbranch_execz .LBB2_130
; %bb.128:
	v_mov_b32_e32 v10, 0
	global_load_dwordx2 v[4:5], v10, s[2:3] offset:40
	global_load_dwordx2 v[14:15], v10, s[2:3] offset:24 sc0 sc1
	global_load_dwordx2 v[6:7], v10, s[2:3]
	s_waitcnt vmcnt(2)
	v_readfirstlane_b32 s8, v4
	v_readfirstlane_b32 s9, v5
	s_add_u32 s10, s8, 1
	s_addc_u32 s11, s9, 0
	s_add_u32 s0, s10, s4
	s_addc_u32 s1, s11, s5
	s_cmp_eq_u64 s[0:1], 0
	s_cselect_b32 s1, s11, s1
	s_cselect_b32 s0, s10, s0
	s_and_b64 s[4:5], s[0:1], s[8:9]
	s_mul_i32 s5, s5, 24
	s_mul_hi_u32 s8, s4, 24
	s_mul_i32 s4, s4, 24
	s_add_i32 s5, s8, s5
	s_waitcnt vmcnt(0)
	v_lshl_add_u64 v[8:9], v[6:7], 0, s[4:5]
	v_mov_b32_e32 v12, s0
	global_store_dwordx2 v[8:9], v[14:15], off
	v_mov_b32_e32 v13, s1
	buffer_wbl2 sc0 sc1
	s_waitcnt vmcnt(0)
	global_atomic_cmpswap_x2 v[6:7], v10, v[12:15], s[2:3] offset:24 sc0 sc1
	s_mov_b64 s[4:5], 0
	s_waitcnt vmcnt(0)
	v_cmp_ne_u64_e32 vcc, v[6:7], v[14:15]
	s_and_b64 exec, exec, vcc
	s_cbranch_execz .LBB2_130
.LBB2_129:                              ; =>This Inner Loop Header: Depth=1
	s_sleep 1
	global_store_dwordx2 v[8:9], v[6:7], off
	v_mov_b32_e32 v4, s0
	v_mov_b32_e32 v5, s1
	buffer_wbl2 sc0 sc1
	s_waitcnt vmcnt(0)
	global_atomic_cmpswap_x2 v[4:5], v10, v[4:7], s[2:3] offset:24 sc0 sc1
	s_waitcnt vmcnt(0)
	v_cmp_eq_u64_e32 vcc, v[4:5], v[6:7]
	s_or_b64 s[4:5], vcc, s[4:5]
	v_mov_b64_e32 v[6:7], v[4:5]
	s_andn2_b64 exec, exec, s[4:5]
	s_cbranch_execnz .LBB2_129
.LBB2_130:
	s_or_b64 exec, exec, s[6:7]
	s_getpc_b64 s[4:5]
	s_add_u32 s4, s4, .str.28@rel32@lo+4
	s_addc_u32 s5, s5, .str.28@rel32@hi+12
	s_cmp_lg_u64 s[4:5], 0
	s_cbranch_scc0 .LBB2_217
; %bb.131:
	s_waitcnt vmcnt(0)
	v_and_b32_e32 v8, -3, v2
	v_mov_b32_e32 v9, v3
	s_mov_b64 s[6:7], 35
	v_mov_b32_e32 v31, 0
	v_mov_b32_e32 v6, 2
	;; [unrolled: 1-line block ×3, first 2 shown]
	s_branch .LBB2_133
.LBB2_132:                              ;   in Loop: Header=BB2_133 Depth=1
	s_or_b64 exec, exec, s[12:13]
	s_sub_u32 s6, s6, s8
	s_subb_u32 s7, s7, s9
	s_add_u32 s4, s4, s8
	s_addc_u32 s5, s5, s9
	s_cmp_lg_u64 s[6:7], 0
	s_cbranch_scc0 .LBB2_216
.LBB2_133:                              ; =>This Loop Header: Depth=1
                                        ;     Child Loop BB2_136 Depth 2
                                        ;     Child Loop BB2_144 Depth 2
                                        ;     Child Loop BB2_152 Depth 2
                                        ;     Child Loop BB2_160 Depth 2
                                        ;     Child Loop BB2_168 Depth 2
                                        ;     Child Loop BB2_176 Depth 2
                                        ;     Child Loop BB2_184 Depth 2
                                        ;     Child Loop BB2_190 Depth 2
                                        ;     Child Loop BB2_198 Depth 2
                                        ;     Child Loop BB2_205 Depth 2
                                        ;     Child Loop BB2_212 Depth 2
	v_cmp_lt_u64_e64 s[0:1], s[6:7], 56
	s_and_b64 s[0:1], s[0:1], exec
	s_cselect_b32 s9, s7, 0
	s_cselect_b32 s8, s6, 56
	v_cmp_gt_u64_e64 s[10:11], s[6:7], 7
	s_add_u32 s0, s4, 8
	s_addc_u32 s1, s5, 0
	s_and_b64 vcc, exec, s[10:11]
	s_cbranch_vccnz .LBB2_137
; %bb.134:                              ;   in Loop: Header=BB2_133 Depth=1
	s_cmp_eq_u64 s[6:7], 0
	s_cbranch_scc1 .LBB2_138
; %bb.135:                              ;   in Loop: Header=BB2_133 Depth=1
	s_lshl_b64 s[0:1], s[8:9], 3
	s_mov_b64 s[10:11], 0
	s_waitcnt vmcnt(0)
	v_mov_b64_e32 v[10:11], 0
	s_mov_b64 s[12:13], s[4:5]
.LBB2_136:                              ;   Parent Loop BB2_133 Depth=1
                                        ; =>  This Inner Loop Header: Depth=2
	global_load_ubyte v4, v31, s[12:13]
	s_waitcnt vmcnt(0)
	v_and_b32_e32 v30, 0xffff, v4
	v_lshlrev_b64 v[4:5], s10, v[30:31]
	s_add_u32 s10, s10, 8
	s_addc_u32 s11, s11, 0
	s_add_u32 s12, s12, 1
	s_addc_u32 s13, s13, 0
	v_or_b32_e32 v10, v4, v10
	s_cmp_lg_u32 s0, s10
	v_or_b32_e32 v11, v5, v11
	s_cbranch_scc1 .LBB2_136
	s_branch .LBB2_139
.LBB2_137:                              ;   in Loop: Header=BB2_133 Depth=1
	s_mov_b32 s14, 0
	s_branch .LBB2_140
.LBB2_138:                              ;   in Loop: Header=BB2_133 Depth=1
	s_waitcnt vmcnt(0)
	v_mov_b64_e32 v[10:11], 0
.LBB2_139:                              ;   in Loop: Header=BB2_133 Depth=1
	s_mov_b64 s[0:1], s[4:5]
	s_mov_b32 s14, 0
	s_cbranch_execnz .LBB2_141
.LBB2_140:                              ;   in Loop: Header=BB2_133 Depth=1
	global_load_dwordx2 v[10:11], v31, s[4:5]
	s_add_i32 s14, s8, -8
.LBB2_141:                              ;   in Loop: Header=BB2_133 Depth=1
	s_add_u32 s10, s0, 8
	s_addc_u32 s11, s1, 0
	s_cmp_gt_u32 s14, 7
	s_cbranch_scc1 .LBB2_145
; %bb.142:                              ;   in Loop: Header=BB2_133 Depth=1
	s_cmp_eq_u32 s14, 0
	s_cbranch_scc1 .LBB2_146
; %bb.143:                              ;   in Loop: Header=BB2_133 Depth=1
	s_mov_b64 s[10:11], 0
	v_mov_b64_e32 v[12:13], 0
	s_mov_b64 s[12:13], 0
.LBB2_144:                              ;   Parent Loop BB2_133 Depth=1
                                        ; =>  This Inner Loop Header: Depth=2
	s_add_u32 s16, s0, s12
	s_addc_u32 s17, s1, s13
	global_load_ubyte v4, v31, s[16:17]
	s_add_u32 s12, s12, 1
	s_addc_u32 s13, s13, 0
	s_waitcnt vmcnt(0)
	v_and_b32_e32 v30, 0xffff, v4
	v_lshlrev_b64 v[4:5], s10, v[30:31]
	s_add_u32 s10, s10, 8
	s_addc_u32 s11, s11, 0
	v_or_b32_e32 v12, v4, v12
	s_cmp_lg_u32 s14, s12
	v_or_b32_e32 v13, v5, v13
	s_cbranch_scc1 .LBB2_144
	s_branch .LBB2_147
.LBB2_145:                              ;   in Loop: Header=BB2_133 Depth=1
                                        ; implicit-def: $vgpr12_vgpr13
	s_mov_b32 s15, 0
	s_branch .LBB2_148
.LBB2_146:                              ;   in Loop: Header=BB2_133 Depth=1
	v_mov_b64_e32 v[12:13], 0
.LBB2_147:                              ;   in Loop: Header=BB2_133 Depth=1
	s_mov_b64 s[10:11], s[0:1]
	s_mov_b32 s15, 0
	s_cbranch_execnz .LBB2_149
.LBB2_148:                              ;   in Loop: Header=BB2_133 Depth=1
	global_load_dwordx2 v[12:13], v31, s[0:1]
	s_add_i32 s15, s14, -8
.LBB2_149:                              ;   in Loop: Header=BB2_133 Depth=1
	s_add_u32 s0, s10, 8
	s_addc_u32 s1, s11, 0
	s_cmp_gt_u32 s15, 7
	s_cbranch_scc1 .LBB2_153
; %bb.150:                              ;   in Loop: Header=BB2_133 Depth=1
	s_cmp_eq_u32 s15, 0
	s_cbranch_scc1 .LBB2_154
; %bb.151:                              ;   in Loop: Header=BB2_133 Depth=1
	s_mov_b64 s[0:1], 0
	v_mov_b64_e32 v[14:15], 0
	s_mov_b64 s[12:13], 0
.LBB2_152:                              ;   Parent Loop BB2_133 Depth=1
                                        ; =>  This Inner Loop Header: Depth=2
	s_add_u32 s16, s10, s12
	s_addc_u32 s17, s11, s13
	global_load_ubyte v4, v31, s[16:17]
	s_add_u32 s12, s12, 1
	s_addc_u32 s13, s13, 0
	s_waitcnt vmcnt(0)
	v_and_b32_e32 v30, 0xffff, v4
	v_lshlrev_b64 v[4:5], s0, v[30:31]
	s_add_u32 s0, s0, 8
	s_addc_u32 s1, s1, 0
	v_or_b32_e32 v14, v4, v14
	s_cmp_lg_u32 s15, s12
	v_or_b32_e32 v15, v5, v15
	s_cbranch_scc1 .LBB2_152
	s_branch .LBB2_155
.LBB2_153:                              ;   in Loop: Header=BB2_133 Depth=1
	s_mov_b32 s14, 0
	s_branch .LBB2_156
.LBB2_154:                              ;   in Loop: Header=BB2_133 Depth=1
	v_mov_b64_e32 v[14:15], 0
.LBB2_155:                              ;   in Loop: Header=BB2_133 Depth=1
	s_mov_b64 s[0:1], s[10:11]
	s_mov_b32 s14, 0
	s_cbranch_execnz .LBB2_157
.LBB2_156:                              ;   in Loop: Header=BB2_133 Depth=1
	global_load_dwordx2 v[14:15], v31, s[10:11]
	s_add_i32 s14, s15, -8
.LBB2_157:                              ;   in Loop: Header=BB2_133 Depth=1
	s_add_u32 s10, s0, 8
	s_addc_u32 s11, s1, 0
	s_cmp_gt_u32 s14, 7
	s_cbranch_scc1 .LBB2_161
; %bb.158:                              ;   in Loop: Header=BB2_133 Depth=1
	s_cmp_eq_u32 s14, 0
	s_cbranch_scc1 .LBB2_162
; %bb.159:                              ;   in Loop: Header=BB2_133 Depth=1
	s_mov_b64 s[10:11], 0
	v_mov_b64_e32 v[16:17], 0
	s_mov_b64 s[12:13], 0
.LBB2_160:                              ;   Parent Loop BB2_133 Depth=1
                                        ; =>  This Inner Loop Header: Depth=2
	s_add_u32 s16, s0, s12
	s_addc_u32 s17, s1, s13
	global_load_ubyte v4, v31, s[16:17]
	s_add_u32 s12, s12, 1
	s_addc_u32 s13, s13, 0
	s_waitcnt vmcnt(0)
	v_and_b32_e32 v30, 0xffff, v4
	v_lshlrev_b64 v[4:5], s10, v[30:31]
	s_add_u32 s10, s10, 8
	s_addc_u32 s11, s11, 0
	v_or_b32_e32 v16, v4, v16
	s_cmp_lg_u32 s14, s12
	v_or_b32_e32 v17, v5, v17
	s_cbranch_scc1 .LBB2_160
	s_branch .LBB2_163
.LBB2_161:                              ;   in Loop: Header=BB2_133 Depth=1
                                        ; implicit-def: $vgpr16_vgpr17
	s_mov_b32 s15, 0
	s_branch .LBB2_164
.LBB2_162:                              ;   in Loop: Header=BB2_133 Depth=1
	v_mov_b64_e32 v[16:17], 0
.LBB2_163:                              ;   in Loop: Header=BB2_133 Depth=1
	s_mov_b64 s[10:11], s[0:1]
	s_mov_b32 s15, 0
	s_cbranch_execnz .LBB2_165
.LBB2_164:                              ;   in Loop: Header=BB2_133 Depth=1
	global_load_dwordx2 v[16:17], v31, s[0:1]
	s_add_i32 s15, s14, -8
.LBB2_165:                              ;   in Loop: Header=BB2_133 Depth=1
	s_add_u32 s0, s10, 8
	s_addc_u32 s1, s11, 0
	s_cmp_gt_u32 s15, 7
	s_cbranch_scc1 .LBB2_169
; %bb.166:                              ;   in Loop: Header=BB2_133 Depth=1
	s_cmp_eq_u32 s15, 0
	s_cbranch_scc1 .LBB2_170
; %bb.167:                              ;   in Loop: Header=BB2_133 Depth=1
	s_mov_b64 s[0:1], 0
	v_mov_b64_e32 v[18:19], 0
	s_mov_b64 s[12:13], 0
.LBB2_168:                              ;   Parent Loop BB2_133 Depth=1
                                        ; =>  This Inner Loop Header: Depth=2
	s_add_u32 s16, s10, s12
	s_addc_u32 s17, s11, s13
	global_load_ubyte v4, v31, s[16:17]
	s_add_u32 s12, s12, 1
	s_addc_u32 s13, s13, 0
	s_waitcnt vmcnt(0)
	v_and_b32_e32 v30, 0xffff, v4
	v_lshlrev_b64 v[4:5], s0, v[30:31]
	s_add_u32 s0, s0, 8
	s_addc_u32 s1, s1, 0
	v_or_b32_e32 v18, v4, v18
	s_cmp_lg_u32 s15, s12
	v_or_b32_e32 v19, v5, v19
	s_cbranch_scc1 .LBB2_168
	s_branch .LBB2_171
.LBB2_169:                              ;   in Loop: Header=BB2_133 Depth=1
	s_mov_b32 s14, 0
	s_branch .LBB2_172
.LBB2_170:                              ;   in Loop: Header=BB2_133 Depth=1
	v_mov_b64_e32 v[18:19], 0
.LBB2_171:                              ;   in Loop: Header=BB2_133 Depth=1
	s_mov_b64 s[0:1], s[10:11]
	s_mov_b32 s14, 0
	s_cbranch_execnz .LBB2_173
.LBB2_172:                              ;   in Loop: Header=BB2_133 Depth=1
	global_load_dwordx2 v[18:19], v31, s[10:11]
	s_add_i32 s14, s15, -8
.LBB2_173:                              ;   in Loop: Header=BB2_133 Depth=1
	s_add_u32 s10, s0, 8
	s_addc_u32 s11, s1, 0
	s_cmp_gt_u32 s14, 7
	s_cbranch_scc1 .LBB2_177
; %bb.174:                              ;   in Loop: Header=BB2_133 Depth=1
	s_cmp_eq_u32 s14, 0
	s_cbranch_scc1 .LBB2_178
; %bb.175:                              ;   in Loop: Header=BB2_133 Depth=1
	s_mov_b64 s[10:11], 0
	v_mov_b64_e32 v[20:21], 0
	s_mov_b64 s[12:13], 0
.LBB2_176:                              ;   Parent Loop BB2_133 Depth=1
                                        ; =>  This Inner Loop Header: Depth=2
	s_add_u32 s16, s0, s12
	s_addc_u32 s17, s1, s13
	global_load_ubyte v4, v31, s[16:17]
	s_add_u32 s12, s12, 1
	s_addc_u32 s13, s13, 0
	s_waitcnt vmcnt(0)
	v_and_b32_e32 v30, 0xffff, v4
	v_lshlrev_b64 v[4:5], s10, v[30:31]
	s_add_u32 s10, s10, 8
	s_addc_u32 s11, s11, 0
	v_or_b32_e32 v20, v4, v20
	s_cmp_lg_u32 s14, s12
	v_or_b32_e32 v21, v5, v21
	s_cbranch_scc1 .LBB2_176
	s_branch .LBB2_179
.LBB2_177:                              ;   in Loop: Header=BB2_133 Depth=1
                                        ; implicit-def: $vgpr20_vgpr21
	s_mov_b32 s15, 0
	s_branch .LBB2_180
.LBB2_178:                              ;   in Loop: Header=BB2_133 Depth=1
	v_mov_b64_e32 v[20:21], 0
.LBB2_179:                              ;   in Loop: Header=BB2_133 Depth=1
	s_mov_b64 s[10:11], s[0:1]
	s_mov_b32 s15, 0
	s_cbranch_execnz .LBB2_181
.LBB2_180:                              ;   in Loop: Header=BB2_133 Depth=1
	global_load_dwordx2 v[20:21], v31, s[0:1]
	s_add_i32 s15, s14, -8
.LBB2_181:                              ;   in Loop: Header=BB2_133 Depth=1
	s_cmp_gt_u32 s15, 7
	s_cbranch_scc1 .LBB2_213
; %bb.182:                              ;   in Loop: Header=BB2_133 Depth=1
	s_cmp_eq_u32 s15, 0
	s_cbranch_scc1 .LBB2_214
; %bb.183:                              ;   in Loop: Header=BB2_133 Depth=1
	s_mov_b64 s[0:1], 0
	v_mov_b64_e32 v[22:23], 0
	s_mov_b64 s[12:13], s[10:11]
.LBB2_184:                              ;   Parent Loop BB2_133 Depth=1
                                        ; =>  This Inner Loop Header: Depth=2
	global_load_ubyte v4, v31, s[12:13]
	s_add_i32 s15, s15, -1
	s_waitcnt vmcnt(0)
	v_and_b32_e32 v30, 0xffff, v4
	v_lshlrev_b64 v[4:5], s0, v[30:31]
	s_add_u32 s0, s0, 8
	s_addc_u32 s1, s1, 0
	s_add_u32 s12, s12, 1
	s_addc_u32 s13, s13, 0
	v_or_b32_e32 v22, v4, v22
	s_cmp_lg_u32 s15, 0
	v_or_b32_e32 v23, v5, v23
	s_cbranch_scc1 .LBB2_184
; %bb.185:                              ;   in Loop: Header=BB2_133 Depth=1
	s_cbranch_execnz .LBB2_187
.LBB2_186:                              ;   in Loop: Header=BB2_133 Depth=1
	global_load_dwordx2 v[22:23], v31, s[10:11]
.LBB2_187:                              ;   in Loop: Header=BB2_133 Depth=1
	v_readfirstlane_b32 s0, v1
	v_mov_b64_e32 v[4:5], 0
	s_nop 0
	v_cmp_eq_u32_e64 s[0:1], s0, v1
	s_and_saveexec_b64 s[10:11], s[0:1]
	s_cbranch_execz .LBB2_193
; %bb.188:                              ;   in Loop: Header=BB2_133 Depth=1
	global_load_dwordx2 v[26:27], v31, s[2:3] offset:24 sc0 sc1
	s_waitcnt vmcnt(0)
	buffer_inv sc0 sc1
	global_load_dwordx2 v[4:5], v31, s[2:3] offset:40
	global_load_dwordx2 v[24:25], v31, s[2:3]
	s_waitcnt vmcnt(1)
	v_and_b32_e32 v4, v4, v26
	v_and_b32_e32 v5, v5, v27
	v_mul_lo_u32 v5, v5, 24
	v_mul_hi_u32 v29, v4, 24
	v_add_u32_e32 v5, v29, v5
	v_mul_lo_u32 v4, v4, 24
	s_waitcnt vmcnt(0)
	v_lshl_add_u64 v[4:5], v[24:25], 0, v[4:5]
	global_load_dwordx2 v[24:25], v[4:5], off sc0 sc1
	s_waitcnt vmcnt(0)
	global_atomic_cmpswap_x2 v[4:5], v31, v[24:27], s[2:3] offset:24 sc0 sc1
	s_waitcnt vmcnt(0)
	buffer_inv sc0 sc1
	v_cmp_ne_u64_e32 vcc, v[4:5], v[26:27]
	s_and_saveexec_b64 s[12:13], vcc
	s_cbranch_execz .LBB2_192
; %bb.189:                              ;   in Loop: Header=BB2_133 Depth=1
	s_mov_b64 s[14:15], 0
.LBB2_190:                              ;   Parent Loop BB2_133 Depth=1
                                        ; =>  This Inner Loop Header: Depth=2
	s_sleep 1
	global_load_dwordx2 v[24:25], v31, s[2:3] offset:40
	global_load_dwordx2 v[32:33], v31, s[2:3]
	v_mov_b64_e32 v[26:27], v[4:5]
	s_waitcnt vmcnt(1)
	v_and_b32_e32 v4, v24, v26
	s_waitcnt vmcnt(0)
	v_mad_u64_u32 v[4:5], s[16:17], v4, 24, v[32:33]
	v_and_b32_e32 v25, v25, v27
	v_mov_b32_e32 v24, v5
	v_mad_u64_u32 v[24:25], s[16:17], v25, 24, v[24:25]
	v_mov_b32_e32 v5, v24
	global_load_dwordx2 v[24:25], v[4:5], off sc0 sc1
	s_waitcnt vmcnt(0)
	global_atomic_cmpswap_x2 v[4:5], v31, v[24:27], s[2:3] offset:24 sc0 sc1
	s_waitcnt vmcnt(0)
	buffer_inv sc0 sc1
	v_cmp_eq_u64_e32 vcc, v[4:5], v[26:27]
	s_or_b64 s[14:15], vcc, s[14:15]
	s_andn2_b64 exec, exec, s[14:15]
	s_cbranch_execnz .LBB2_190
; %bb.191:                              ;   in Loop: Header=BB2_133 Depth=1
	s_or_b64 exec, exec, s[14:15]
.LBB2_192:                              ;   in Loop: Header=BB2_133 Depth=1
	s_or_b64 exec, exec, s[12:13]
.LBB2_193:                              ;   in Loop: Header=BB2_133 Depth=1
	s_or_b64 exec, exec, s[10:11]
	global_load_dwordx2 v[32:33], v31, s[2:3] offset:40
	global_load_dwordx4 v[24:27], v31, s[2:3]
	v_readfirstlane_b32 s11, v5
	v_readfirstlane_b32 s10, v4
	s_mov_b64 s[12:13], exec
	s_waitcnt vmcnt(1)
	v_readfirstlane_b32 s14, v32
	v_readfirstlane_b32 s15, v33
	s_and_b64 s[14:15], s[14:15], s[10:11]
	s_mul_i32 s16, s15, 24
	s_mul_hi_u32 s17, s14, 24
	s_add_i32 s17, s17, s16
	s_mul_i32 s16, s14, 24
	s_waitcnt vmcnt(0)
	v_lshl_add_u64 v[32:33], v[24:25], 0, s[16:17]
	s_and_saveexec_b64 s[16:17], s[0:1]
	s_cbranch_execz .LBB2_195
; %bb.194:                              ;   in Loop: Header=BB2_133 Depth=1
	v_mov_b64_e32 v[4:5], s[12:13]
	global_store_dwordx4 v[32:33], v[4:7], off offset:8
.LBB2_195:                              ;   in Loop: Header=BB2_133 Depth=1
	s_or_b64 exec, exec, s[16:17]
	s_lshl_b64 s[12:13], s[14:15], 12
	v_lshl_add_u64 v[4:5], v[26:27], 0, s[12:13]
	v_cmp_gt_u64_e64 s[12:13], s[6:7], 56
	s_and_b64 s[12:13], s[12:13], exec
	s_cselect_b32 s12, 0, 2
	s_lshl_b32 s13, s8, 2
	s_add_i32 s13, s13, 28
	v_and_b32_e32 v8, 0xffffff1f, v8
	s_and_b32 s13, s13, 0x1e0
	v_or_b32_e32 v8, s12, v8
	v_or_b32_e32 v8, s13, v8
	v_readfirstlane_b32 s12, v4
	v_readfirstlane_b32 s13, v5
	s_nop 4
	global_store_dwordx4 v28, v[8:11], s[12:13]
	global_store_dwordx4 v28, v[12:15], s[12:13] offset:16
	global_store_dwordx4 v28, v[16:19], s[12:13] offset:32
	;; [unrolled: 1-line block ×3, first 2 shown]
	s_and_saveexec_b64 s[12:13], s[0:1]
	s_cbranch_execz .LBB2_203
; %bb.196:                              ;   in Loop: Header=BB2_133 Depth=1
	global_load_dwordx2 v[16:17], v31, s[2:3] offset:32 sc0 sc1
	global_load_dwordx2 v[8:9], v31, s[2:3] offset:40
	v_mov_b32_e32 v14, s10
	v_mov_b32_e32 v15, s11
	s_waitcnt vmcnt(0)
	v_readfirstlane_b32 s14, v8
	v_readfirstlane_b32 s15, v9
	s_and_b64 s[14:15], s[14:15], s[10:11]
	s_mul_i32 s15, s15, 24
	s_mul_hi_u32 s16, s14, 24
	s_mul_i32 s14, s14, 24
	s_add_i32 s15, s16, s15
	v_lshl_add_u64 v[12:13], v[24:25], 0, s[14:15]
	global_store_dwordx2 v[12:13], v[16:17], off
	buffer_wbl2 sc0 sc1
	s_waitcnt vmcnt(0)
	global_atomic_cmpswap_x2 v[10:11], v31, v[14:17], s[2:3] offset:32 sc0 sc1
	s_waitcnt vmcnt(0)
	v_cmp_ne_u64_e32 vcc, v[10:11], v[16:17]
	s_and_saveexec_b64 s[14:15], vcc
	s_cbranch_execz .LBB2_199
; %bb.197:                              ;   in Loop: Header=BB2_133 Depth=1
	s_mov_b64 s[16:17], 0
.LBB2_198:                              ;   Parent Loop BB2_133 Depth=1
                                        ; =>  This Inner Loop Header: Depth=2
	s_sleep 1
	global_store_dwordx2 v[12:13], v[10:11], off
	v_mov_b32_e32 v8, s10
	v_mov_b32_e32 v9, s11
	buffer_wbl2 sc0 sc1
	s_waitcnt vmcnt(0)
	global_atomic_cmpswap_x2 v[8:9], v31, v[8:11], s[2:3] offset:32 sc0 sc1
	s_waitcnt vmcnt(0)
	v_cmp_eq_u64_e32 vcc, v[8:9], v[10:11]
	s_or_b64 s[16:17], vcc, s[16:17]
	v_mov_b64_e32 v[10:11], v[8:9]
	s_andn2_b64 exec, exec, s[16:17]
	s_cbranch_execnz .LBB2_198
.LBB2_199:                              ;   in Loop: Header=BB2_133 Depth=1
	s_or_b64 exec, exec, s[14:15]
	global_load_dwordx2 v[8:9], v31, s[2:3] offset:16
	s_mov_b64 s[16:17], exec
	v_mbcnt_lo_u32_b32 v10, s16, 0
	v_mbcnt_hi_u32_b32 v10, s17, v10
	v_cmp_eq_u32_e32 vcc, 0, v10
	s_and_saveexec_b64 s[14:15], vcc
	s_cbranch_execz .LBB2_201
; %bb.200:                              ;   in Loop: Header=BB2_133 Depth=1
	s_bcnt1_i32_b64 s16, s[16:17]
	v_mov_b32_e32 v30, s16
	buffer_wbl2 sc0 sc1
	s_waitcnt vmcnt(0)
	global_atomic_add_x2 v[8:9], v[30:31], off offset:8 sc1
.LBB2_201:                              ;   in Loop: Header=BB2_133 Depth=1
	s_or_b64 exec, exec, s[14:15]
	s_waitcnt vmcnt(0)
	global_load_dwordx2 v[10:11], v[8:9], off offset:16
	s_waitcnt vmcnt(0)
	v_cmp_eq_u64_e32 vcc, 0, v[10:11]
	s_cbranch_vccnz .LBB2_203
; %bb.202:                              ;   in Loop: Header=BB2_133 Depth=1
	global_load_dword v30, v[8:9], off offset:24
	s_waitcnt vmcnt(0)
	v_readfirstlane_b32 s14, v30
	s_and_b32 m0, s14, 0xffffff
	buffer_wbl2 sc0 sc1
	global_store_dwordx2 v[10:11], v[30:31], off sc0 sc1
	s_sendmsg sendmsg(MSG_INTERRUPT)
.LBB2_203:                              ;   in Loop: Header=BB2_133 Depth=1
	s_or_b64 exec, exec, s[12:13]
	v_mov_b32_e32 v29, v31
	v_lshl_add_u64 v[4:5], v[4:5], 0, v[28:29]
	s_branch .LBB2_205
.LBB2_204:                              ;   in Loop: Header=BB2_133 Depth=1
	s_branch .LBB2_209
.LBB2_205:                              ;   Parent Loop BB2_133 Depth=1
                                        ; =>  This Inner Loop Header: Depth=2
	v_mov_b32_e32 v8, 1
	s_and_saveexec_b64 s[12:13], s[0:1]
	s_cbranch_execz .LBB2_207
; %bb.206:                              ;   in Loop: Header=BB2_205 Depth=2
	global_load_dword v8, v[32:33], off offset:20 sc0 sc1
	s_waitcnt vmcnt(0)
	buffer_inv sc0 sc1
	v_and_b32_e32 v8, 1, v8
.LBB2_207:                              ;   in Loop: Header=BB2_205 Depth=2
	s_or_b64 exec, exec, s[12:13]
	v_readfirstlane_b32 s12, v8
	s_cmp_eq_u32 s12, 0
	s_cbranch_scc1 .LBB2_204
; %bb.208:                              ;   in Loop: Header=BB2_205 Depth=2
	s_sleep 1
	s_cbranch_execnz .LBB2_205
.LBB2_209:                              ;   in Loop: Header=BB2_133 Depth=1
	global_load_dwordx4 v[8:11], v[4:5], off
	s_and_saveexec_b64 s[12:13], s[0:1]
	s_cbranch_execz .LBB2_132
; %bb.210:                              ;   in Loop: Header=BB2_133 Depth=1
	global_load_dwordx2 v[4:5], v31, s[2:3] offset:40
	global_load_dwordx2 v[14:15], v31, s[2:3] offset:24 sc0 sc1
	global_load_dwordx2 v[10:11], v31, s[2:3]
	s_waitcnt vmcnt(2)
	v_readfirstlane_b32 s14, v4
	v_readfirstlane_b32 s15, v5
	s_add_u32 s16, s14, 1
	s_addc_u32 s17, s15, 0
	s_add_u32 s0, s16, s10
	s_addc_u32 s1, s17, s11
	s_cmp_eq_u64 s[0:1], 0
	s_cselect_b32 s1, s17, s1
	s_cselect_b32 s0, s16, s0
	s_and_b64 s[10:11], s[0:1], s[14:15]
	s_mul_i32 s11, s11, 24
	s_mul_hi_u32 s14, s10, 24
	s_mul_i32 s10, s10, 24
	s_add_i32 s11, s14, s11
	s_waitcnt vmcnt(0)
	v_lshl_add_u64 v[4:5], v[10:11], 0, s[10:11]
	v_mov_b32_e32 v12, s0
	global_store_dwordx2 v[4:5], v[14:15], off
	v_mov_b32_e32 v13, s1
	buffer_wbl2 sc0 sc1
	s_waitcnt vmcnt(0)
	global_atomic_cmpswap_x2 v[12:13], v31, v[12:15], s[2:3] offset:24 sc0 sc1
	s_waitcnt vmcnt(0)
	v_cmp_ne_u64_e32 vcc, v[12:13], v[14:15]
	s_and_b64 exec, exec, vcc
	s_cbranch_execz .LBB2_132
; %bb.211:                              ;   in Loop: Header=BB2_133 Depth=1
	s_mov_b64 s[10:11], 0
.LBB2_212:                              ;   Parent Loop BB2_133 Depth=1
                                        ; =>  This Inner Loop Header: Depth=2
	s_sleep 1
	global_store_dwordx2 v[4:5], v[12:13], off
	v_mov_b32_e32 v10, s0
	v_mov_b32_e32 v11, s1
	buffer_wbl2 sc0 sc1
	s_waitcnt vmcnt(0)
	global_atomic_cmpswap_x2 v[10:11], v31, v[10:13], s[2:3] offset:24 sc0 sc1
	s_waitcnt vmcnt(0)
	v_cmp_eq_u64_e32 vcc, v[10:11], v[12:13]
	s_or_b64 s[10:11], vcc, s[10:11]
	v_mov_b64_e32 v[12:13], v[10:11]
	s_andn2_b64 exec, exec, s[10:11]
	s_cbranch_execnz .LBB2_212
	s_branch .LBB2_132
.LBB2_213:                              ;   in Loop: Header=BB2_133 Depth=1
	s_branch .LBB2_186
.LBB2_214:                              ;   in Loop: Header=BB2_133 Depth=1
	v_mov_b64_e32 v[22:23], 0
	s_cbranch_execnz .LBB2_187
	s_branch .LBB2_186
.LBB2_215:
	s_or_b64 exec, exec, s[24:25]
	s_mov_b64 s[24:25], exec
	s_orn2_b64 s[0:1], s[22:23], exec
	s_or_b64 exec, exec, s[16:17]
	s_mov_b64 s[52:53], s[36:37]
	s_and_saveexec_b64 s[22:23], s[0:1]
	s_cbranch_execz .LBB2_48
	s_branch .LBB2_47
.LBB2_216:
	s_mov_b64 s[0:1], 0
	s_branch .LBB2_218
.LBB2_217:
	s_mov_b64 s[0:1], -1
.LBB2_218:
	v_mov_b32_e32 v53, v0
	s_and_b64 vcc, exec, s[0:1]
	s_cbranch_vccz .LBB2_245
; %bb.219:
	v_readfirstlane_b32 s0, v1
	s_nop 1
	v_cmp_eq_u32_e64 s[0:1], s0, v1
	v_mov_b64_e32 v[0:1], 0
	s_and_saveexec_b64 s[4:5], s[0:1]
	s_cbranch_execz .LBB2_225
; %bb.220:
	v_mov_b32_e32 v4, 0
	global_load_dwordx2 v[8:9], v4, s[2:3] offset:24 sc0 sc1
	s_waitcnt vmcnt(0)
	buffer_inv sc0 sc1
	global_load_dwordx2 v[0:1], v4, s[2:3] offset:40
	global_load_dwordx2 v[6:7], v4, s[2:3]
	s_waitcnt vmcnt(1)
	v_and_b32_e32 v0, v0, v8
	v_and_b32_e32 v1, v1, v9
	v_mul_lo_u32 v1, v1, 24
	v_mul_hi_u32 v5, v0, 24
	v_add_u32_e32 v1, v5, v1
	v_mul_lo_u32 v0, v0, 24
	s_waitcnt vmcnt(0)
	v_lshl_add_u64 v[0:1], v[6:7], 0, v[0:1]
	global_load_dwordx2 v[6:7], v[0:1], off sc0 sc1
	s_waitcnt vmcnt(0)
	global_atomic_cmpswap_x2 v[0:1], v4, v[6:9], s[2:3] offset:24 sc0 sc1
	s_waitcnt vmcnt(0)
	buffer_inv sc0 sc1
	v_cmp_ne_u64_e32 vcc, v[0:1], v[8:9]
	s_and_saveexec_b64 s[6:7], vcc
	s_cbranch_execz .LBB2_224
; %bb.221:
	s_mov_b64 s[8:9], 0
.LBB2_222:                              ; =>This Inner Loop Header: Depth=1
	s_sleep 1
	global_load_dwordx2 v[6:7], v4, s[2:3] offset:40
	global_load_dwordx2 v[10:11], v4, s[2:3]
	v_mov_b64_e32 v[8:9], v[0:1]
	s_waitcnt vmcnt(1)
	v_and_b32_e32 v0, v6, v8
	s_waitcnt vmcnt(0)
	v_mad_u64_u32 v[0:1], s[10:11], v0, 24, v[10:11]
	v_and_b32_e32 v5, v7, v9
	v_mov_b32_e32 v6, v1
	v_mad_u64_u32 v[6:7], s[10:11], v5, 24, v[6:7]
	v_mov_b32_e32 v1, v6
	global_load_dwordx2 v[6:7], v[0:1], off sc0 sc1
	s_waitcnt vmcnt(0)
	global_atomic_cmpswap_x2 v[0:1], v4, v[6:9], s[2:3] offset:24 sc0 sc1
	s_waitcnt vmcnt(0)
	buffer_inv sc0 sc1
	v_cmp_eq_u64_e32 vcc, v[0:1], v[8:9]
	s_or_b64 s[8:9], vcc, s[8:9]
	s_andn2_b64 exec, exec, s[8:9]
	s_cbranch_execnz .LBB2_222
; %bb.223:
	s_or_b64 exec, exec, s[8:9]
.LBB2_224:
	s_or_b64 exec, exec, s[6:7]
.LBB2_225:
	s_or_b64 exec, exec, s[4:5]
	v_mov_b32_e32 v4, 0
	global_load_dwordx2 v[10:11], v4, s[2:3] offset:40
	global_load_dwordx4 v[6:9], v4, s[2:3]
	v_readfirstlane_b32 s5, v1
	v_readfirstlane_b32 s4, v0
	s_mov_b64 s[6:7], exec
	s_waitcnt vmcnt(1)
	v_readfirstlane_b32 s8, v10
	v_readfirstlane_b32 s9, v11
	s_and_b64 s[8:9], s[8:9], s[4:5]
	s_mul_i32 s10, s9, 24
	s_mul_hi_u32 s11, s8, 24
	s_add_i32 s11, s11, s10
	s_mul_i32 s10, s8, 24
	s_waitcnt vmcnt(0)
	v_lshl_add_u64 v[10:11], v[6:7], 0, s[10:11]
	s_and_saveexec_b64 s[10:11], s[0:1]
	s_cbranch_execz .LBB2_227
; %bb.226:
	v_mov_b64_e32 v[12:13], s[6:7]
	v_mov_b32_e32 v14, 2
	v_mov_b32_e32 v15, 1
	global_store_dwordx4 v[10:11], v[12:15], off offset:8
.LBB2_227:
	s_or_b64 exec, exec, s[10:11]
	s_lshl_b64 s[6:7], s[8:9], 12
	v_lshl_add_u64 v[0:1], v[8:9], 0, s[6:7]
	s_movk_i32 s6, 0xff1d
	s_mov_b32 s8, 0
	v_and_or_b32 v2, v2, s6, 34
	v_mov_b32_e32 v5, v4
	v_readfirstlane_b32 s6, v0
	v_readfirstlane_b32 s7, v1
	s_mov_b32 s9, s8
	s_mov_b32 s10, s8
	s_mov_b32 s11, s8
	s_nop 1
	global_store_dwordx4 v28, v[2:5], s[6:7]
	v_mov_b64_e32 v[0:1], s[8:9]
	s_nop 0
	v_mov_b64_e32 v[2:3], s[10:11]
	global_store_dwordx4 v28, v[0:3], s[6:7] offset:16
	global_store_dwordx4 v28, v[0:3], s[6:7] offset:32
	global_store_dwordx4 v28, v[0:3], s[6:7] offset:48
	s_and_saveexec_b64 s[6:7], s[0:1]
	s_cbranch_execz .LBB2_235
; %bb.228:
	v_mov_b32_e32 v8, 0
	global_load_dwordx2 v[14:15], v8, s[2:3] offset:32 sc0 sc1
	global_load_dwordx2 v[0:1], v8, s[2:3] offset:40
	v_mov_b32_e32 v12, s4
	v_mov_b32_e32 v13, s5
	s_waitcnt vmcnt(0)
	v_readfirstlane_b32 s8, v0
	v_readfirstlane_b32 s9, v1
	s_and_b64 s[8:9], s[8:9], s[4:5]
	s_mul_i32 s9, s9, 24
	s_mul_hi_u32 s10, s8, 24
	s_mul_i32 s8, s8, 24
	s_add_i32 s9, s10, s9
	v_lshl_add_u64 v[4:5], v[6:7], 0, s[8:9]
	global_store_dwordx2 v[4:5], v[14:15], off
	buffer_wbl2 sc0 sc1
	s_waitcnt vmcnt(0)
	global_atomic_cmpswap_x2 v[2:3], v8, v[12:15], s[2:3] offset:32 sc0 sc1
	s_waitcnt vmcnt(0)
	v_cmp_ne_u64_e32 vcc, v[2:3], v[14:15]
	s_and_saveexec_b64 s[8:9], vcc
	s_cbranch_execz .LBB2_231
; %bb.229:
	s_mov_b64 s[10:11], 0
.LBB2_230:                              ; =>This Inner Loop Header: Depth=1
	s_sleep 1
	global_store_dwordx2 v[4:5], v[2:3], off
	v_mov_b32_e32 v0, s4
	v_mov_b32_e32 v1, s5
	buffer_wbl2 sc0 sc1
	s_waitcnt vmcnt(0)
	global_atomic_cmpswap_x2 v[0:1], v8, v[0:3], s[2:3] offset:32 sc0 sc1
	s_waitcnt vmcnt(0)
	v_cmp_eq_u64_e32 vcc, v[0:1], v[2:3]
	s_or_b64 s[10:11], vcc, s[10:11]
	v_mov_b64_e32 v[2:3], v[0:1]
	s_andn2_b64 exec, exec, s[10:11]
	s_cbranch_execnz .LBB2_230
.LBB2_231:
	s_or_b64 exec, exec, s[8:9]
	v_mov_b32_e32 v3, 0
	global_load_dwordx2 v[0:1], v3, s[2:3] offset:16
	s_mov_b64 s[8:9], exec
	v_mbcnt_lo_u32_b32 v2, s8, 0
	v_mbcnt_hi_u32_b32 v2, s9, v2
	v_cmp_eq_u32_e32 vcc, 0, v2
	s_and_saveexec_b64 s[10:11], vcc
	s_cbranch_execz .LBB2_233
; %bb.232:
	s_bcnt1_i32_b64 s8, s[8:9]
	v_mov_b32_e32 v2, s8
	buffer_wbl2 sc0 sc1
	s_waitcnt vmcnt(0)
	global_atomic_add_x2 v[0:1], v[2:3], off offset:8 sc1
.LBB2_233:
	s_or_b64 exec, exec, s[10:11]
	s_waitcnt vmcnt(0)
	global_load_dwordx2 v[2:3], v[0:1], off offset:16
	s_waitcnt vmcnt(0)
	v_cmp_eq_u64_e32 vcc, 0, v[2:3]
	s_cbranch_vccnz .LBB2_235
; %bb.234:
	global_load_dword v0, v[0:1], off offset:24
	v_mov_b32_e32 v1, 0
	s_waitcnt vmcnt(0)
	v_readfirstlane_b32 s8, v0
	s_and_b32 m0, s8, 0xffffff
	buffer_wbl2 sc0 sc1
	global_store_dwordx2 v[2:3], v[0:1], off sc0 sc1
	s_sendmsg sendmsg(MSG_INTERRUPT)
.LBB2_235:
	s_or_b64 exec, exec, s[6:7]
	s_branch .LBB2_237
.LBB2_236:
	s_branch .LBB2_241
.LBB2_237:                              ; =>This Inner Loop Header: Depth=1
	v_mov_b32_e32 v0, 1
	s_and_saveexec_b64 s[6:7], s[0:1]
	s_cbranch_execz .LBB2_239
; %bb.238:                              ;   in Loop: Header=BB2_237 Depth=1
	global_load_dword v0, v[10:11], off offset:20 sc0 sc1
	s_waitcnt vmcnt(0)
	buffer_inv sc0 sc1
	v_and_b32_e32 v0, 1, v0
.LBB2_239:                              ;   in Loop: Header=BB2_237 Depth=1
	s_or_b64 exec, exec, s[6:7]
	v_readfirstlane_b32 s6, v0
	s_cmp_eq_u32 s6, 0
	s_cbranch_scc1 .LBB2_236
; %bb.240:                              ;   in Loop: Header=BB2_237 Depth=1
	s_sleep 1
	s_cbranch_execnz .LBB2_237
.LBB2_241:
	s_and_saveexec_b64 s[6:7], s[0:1]
	s_cbranch_execz .LBB2_244
; %bb.242:
	v_mov_b32_e32 v6, 0
	global_load_dwordx2 v[0:1], v6, s[2:3] offset:40
	global_load_dwordx2 v[10:11], v6, s[2:3] offset:24 sc0 sc1
	global_load_dwordx2 v[2:3], v6, s[2:3]
	s_waitcnt vmcnt(2)
	v_readfirstlane_b32 s8, v0
	v_readfirstlane_b32 s9, v1
	s_add_u32 s10, s8, 1
	s_addc_u32 s11, s9, 0
	s_add_u32 s0, s10, s4
	s_addc_u32 s1, s11, s5
	s_cmp_eq_u64 s[0:1], 0
	s_cselect_b32 s1, s11, s1
	s_cselect_b32 s0, s10, s0
	s_and_b64 s[4:5], s[0:1], s[8:9]
	s_mul_i32 s5, s5, 24
	s_mul_hi_u32 s8, s4, 24
	s_mul_i32 s4, s4, 24
	s_add_i32 s5, s8, s5
	s_waitcnt vmcnt(0)
	v_lshl_add_u64 v[4:5], v[2:3], 0, s[4:5]
	v_mov_b32_e32 v8, s0
	global_store_dwordx2 v[4:5], v[10:11], off
	v_mov_b32_e32 v9, s1
	buffer_wbl2 sc0 sc1
	s_waitcnt vmcnt(0)
	global_atomic_cmpswap_x2 v[2:3], v6, v[8:11], s[2:3] offset:24 sc0 sc1
	s_mov_b64 s[4:5], 0
	s_waitcnt vmcnt(0)
	v_cmp_ne_u64_e32 vcc, v[2:3], v[10:11]
	s_and_b64 exec, exec, vcc
	s_cbranch_execz .LBB2_244
.LBB2_243:                              ; =>This Inner Loop Header: Depth=1
	s_sleep 1
	global_store_dwordx2 v[4:5], v[2:3], off
	v_mov_b32_e32 v0, s0
	v_mov_b32_e32 v1, s1
	buffer_wbl2 sc0 sc1
	s_waitcnt vmcnt(0)
	global_atomic_cmpswap_x2 v[0:1], v6, v[0:3], s[2:3] offset:24 sc0 sc1
	s_waitcnt vmcnt(0)
	v_cmp_eq_u64_e32 vcc, v[0:1], v[2:3]
	s_or_b64 s[4:5], vcc, s[4:5]
	v_mov_b64_e32 v[2:3], v[0:1]
	s_andn2_b64 exec, exec, s[4:5]
	s_cbranch_execnz .LBB2_243
.LBB2_244:
	s_or_b64 exec, exec, s[6:7]
.LBB2_245:
	s_getpc_b64 s[0:1]
	s_add_u32 s0, s0, .str.29@rel32@lo+4
	s_addc_u32 s1, s1, .str.29@rel32@hi+12
	s_getpc_b64 s[2:3]
	s_add_u32 s2, s2, .str.19@rel32@lo+4
	s_addc_u32 s3, s3, .str.19@rel32@hi+12
	s_getpc_b64 s[4:5]
	s_add_u32 s4, s4, __PRETTY_FUNCTION__._ZN7VecsMemIjLi8192EE5fetchEi@rel32@lo+4
	s_addc_u32 s5, s5, __PRETTY_FUNCTION__._ZN7VecsMemIjLi8192EE5fetchEi@rel32@hi+12
	s_getpc_b64 s[6:7]
	s_add_u32 s6, s6, __assert_fail@rel32@lo+4
	s_addc_u32 s7, s7, __assert_fail@rel32@hi+12
	s_mov_b64 s[8:9], s[34:35]
	v_mov_b32_e32 v0, s0
	v_mov_b32_e32 v1, s1
	s_waitcnt vmcnt(0)
	v_mov_b32_e32 v2, s2
	v_mov_b32_e32 v3, s3
	;; [unrolled: 1-line block ×5, first 2 shown]
	s_swappc_b64 s[30:31], s[6:7]
	s_or_b64 s[0:1], s[52:53], exec
	v_mov_b32_e32 v0, v53
.LBB2_246:
	s_or_b64 exec, exec, s[26:27]
	s_andn2_b64 s[2:3], s[52:53], exec
	s_and_b64 s[0:1], s[0:1], exec
	s_or_b64 s[26:27], s[2:3], s[0:1]
	s_orn2_b64 s[0:1], s[24:25], exec
.LBB2_247:
	s_or_b64 exec, exec, s[22:23]
	s_mov_b64 s[2:3], 0
                                        ; implicit-def: $vgpr64
                                        ; implicit-def: $vgpr53
	s_and_saveexec_b64 s[22:23], s[0:1]
	s_cbranch_execz .LBB2_269
; %bb.248:
	s_mov_b64 s[28:29], 0
	v_cmp_ne_u64_e32 vcc, 0, v[66:67]
	s_mov_b64 s[40:41], s[26:27]
	flat_store_dwordx2 v[46:47], v[66:67] offset:8
                                        ; implicit-def: $vgpr64
                                        ; implicit-def: $vgpr53
	s_and_saveexec_b64 s[0:1], vcc
	s_xor_b64 s[24:25], exec, s[0:1]
	s_cbranch_execz .LBB2_266
; %bb.249:
	v_mov_b32_e32 v2, 0
	v_cmp_lt_i32_e32 vcc, 0, v69
	v_lshlrev_b32_e32 v1, 1, v42
	s_and_saveexec_b64 s[0:1], vcc
	s_cbranch_execz .LBB2_254
; %bb.250:
	scratch_load_dwordx2 v[2:3], off, s33 offset:56
	v_lshlrev_b32_e64 v6, v1, 1
	v_mov_b32_e32 v7, v69
	v_mov_b64_e32 v[4:5], v[66:67]
.LBB2_251:                              ; =>This Inner Loop Header: Depth=1
	s_waitcnt vmcnt(0)
	flat_load_dword v8, v[2:3]
	v_add_u32_e32 v7, -1, v7
	v_cmp_eq_u32_e32 vcc, 0, v7
	v_lshl_add_u64 v[2:3], v[2:3], 0, 4
	s_or_b64 s[2:3], vcc, s[2:3]
	s_waitcnt vmcnt(0) lgkmcnt(0)
	v_or_b32_e32 v8, v8, v6
	flat_store_dword v[4:5], v8
	v_lshl_add_u64 v[4:5], v[4:5], 0, 4
	s_andn2_b64 exec, exec, s[2:3]
	s_cbranch_execnz .LBB2_251
; %bb.252:
	s_or_b64 exec, exec, s[2:3]
	v_mov_b32_e32 v2, v69
	s_or_b64 exec, exec, s[0:1]
	v_cmp_lt_i32_e32 vcc, 0, v65
	s_and_saveexec_b64 s[0:1], vcc
	s_cbranch_execnz .LBB2_255
.LBB2_253:
	s_or_b64 exec, exec, s[0:1]
	v_cmp_lt_i32_e32 vcc, 0, v55
	s_and_saveexec_b64 s[0:1], vcc
	s_cbranch_execnz .LBB2_258
	s_branch .LBB2_261
.LBB2_254:
	s_or_b64 exec, exec, s[0:1]
	v_cmp_lt_i32_e32 vcc, 0, v65
	s_and_saveexec_b64 s[0:1], vcc
	s_cbranch_execz .LBB2_253
.LBB2_255:
	scratch_load_dwordx2 v[4:5], off, s33 offset:72
	v_mov_b32_e32 v3, 0
	v_lshlrev_b32_e64 v1, v1, 2
	v_lshl_add_u64 v[6:7], v[2:3], 2, v[66:67]
	v_add_u32_e32 v2, v65, v2
	s_mov_b64 s[2:3], 0
.LBB2_256:                              ; =>This Inner Loop Header: Depth=1
	s_waitcnt vmcnt(0)
	flat_load_dword v3, v[4:5]
	v_add_u32_e32 v65, -1, v65
	v_cmp_eq_u32_e32 vcc, 0, v65
	v_lshl_add_u64 v[4:5], v[4:5], 0, 4
	s_or_b64 s[2:3], vcc, s[2:3]
	s_waitcnt vmcnt(0) lgkmcnt(0)
	v_or_b32_e32 v3, v3, v1
	flat_store_dword v[6:7], v3
	v_lshl_add_u64 v[6:7], v[6:7], 0, 4
	s_andn2_b64 exec, exec, s[2:3]
	s_cbranch_execnz .LBB2_256
; %bb.257:
	s_or_b64 exec, exec, s[2:3]
	s_or_b64 exec, exec, s[0:1]
	v_cmp_lt_i32_e32 vcc, 0, v55
	s_and_saveexec_b64 s[0:1], vcc
	s_cbranch_execz .LBB2_261
.LBB2_258:
	scratch_load_dwordx2 v[4:5], off, s33 offset:88
	v_mov_b32_e32 v3, 0
	v_lshl_add_u64 v[6:7], v[2:3], 2, v[66:67]
	v_add_u32_e32 v2, v55, v2
	s_mov_b64 s[2:3], 0
.LBB2_259:                              ; =>This Inner Loop Header: Depth=1
	s_waitcnt vmcnt(0)
	flat_load_dword v1, v[4:5]
	v_add_u32_e32 v55, -1, v55
	v_cmp_eq_u32_e32 vcc, 0, v55
	v_lshl_add_u64 v[4:5], v[4:5], 0, 4
	s_or_b64 s[2:3], vcc, s[2:3]
	s_waitcnt vmcnt(0) lgkmcnt(0)
	flat_store_dword v[6:7], v1
	v_lshl_add_u64 v[6:7], v[6:7], 0, 4
	s_andn2_b64 exec, exec, s[2:3]
	s_cbranch_execnz .LBB2_259
; %bb.260:
	s_or_b64 exec, exec, s[2:3]
.LBB2_261:
	s_or_b64 exec, exec, s[0:1]
	flat_load_dword v1, v[46:47] offset:4
	s_mov_b64 s[0:1], s[26:27]
	s_waitcnt vmcnt(0) lgkmcnt(0)
	v_cmp_ne_u32_e32 vcc, v2, v1
	s_and_saveexec_b64 s[2:3], vcc
	s_xor_b64 s[28:29], exec, s[2:3]
	s_cbranch_execz .LBB2_263
; %bb.262:
	s_getpc_b64 s[0:1]
	s_add_u32 s0, s0, .str.23@rel32@lo+4
	s_addc_u32 s1, s1, .str.23@rel32@hi+12
	s_getpc_b64 s[2:3]
	s_add_u32 s2, s2, .str.16@rel32@lo+4
	s_addc_u32 s3, s3, .str.16@rel32@hi+12
	s_getpc_b64 s[4:5]
	s_add_u32 s4, s4, __PRETTY_FUNCTION__._ZN3sop14minatoIsop5RecEjjiPNS_3SopEP7VecsMemIjLi8192EE@rel32@lo+4
	s_addc_u32 s5, s5, __PRETTY_FUNCTION__._ZN3sop14minatoIsop5RecEjjiPNS_3SopEP7VecsMemIjLi8192EE@rel32@hi+12
	s_getpc_b64 s[6:7]
	s_add_u32 s6, s6, __assert_fail@rel32@lo+4
	s_addc_u32 s7, s7, __assert_fail@rel32@hi+12
	s_mov_b64 s[8:9], s[34:35]
	v_mov_b32_e32 v0, s0
	v_mov_b32_e32 v1, s1
	;; [unrolled: 1-line block ×7, first 2 shown]
	s_swappc_b64 s[30:31], s[6:7]
	s_or_b64 s[0:1], s[26:27], exec
                                        ; implicit-def: $vgpr42
                                        ; implicit-def: $vgpr41
                                        ; implicit-def: $vgpr44
                                        ; implicit-def: $vgpr0
.LBB2_263:
	s_or_saveexec_b64 s[2:3], s[28:29]
	s_mov_b64 s[4:5], 0
                                        ; implicit-def: $vgpr64
                                        ; implicit-def: $vgpr53
	s_xor_b64 exec, exec, s[2:3]
	s_cbranch_execz .LBB2_265
; %bb.264:
	v_mov_b32_e32 v43, 0
	s_getpc_b64 s[6:7]
	s_add_u32 s6, s6, __const._ZN3sop14minatoIsop5RecEjjiPNS_3SopEP7VecsMemIjLi8192EE.uMasks@rel32@lo+4
	s_addc_u32 s7, s7, __const._ZN3sop14minatoIsop5RecEjjiPNS_3SopEP7VecsMemIjLi8192EE.uMasks@rel32@hi+12
	v_lshl_add_u64 v[2:3], v[42:43], 2, s[6:7]
	global_load_dword v1, v[2:3], off
	s_mov_b64 s[4:5], exec
	s_waitcnt vmcnt(0)
	v_bitop3_b32 v2, v41, v1, v41 bitop3:0x30
	v_and_b32_e32 v1, v1, v44
	v_or3_b32 v64, v1, v0, v2
	v_mov_b32_e32 v53, v64
.LBB2_265:
	s_or_b64 exec, exec, s[2:3]
	s_andn2_b64 s[2:3], s[26:27], exec
	s_and_b64 s[0:1], s[0:1], exec
	s_and_b64 s[28:29], s[4:5], exec
	s_or_b64 s[40:41], s[2:3], s[0:1]
.LBB2_266:
	s_andn2_saveexec_b64 s[24:25], s[24:25]
	s_cbranch_execz .LBB2_268
; %bb.267:
	s_getpc_b64 s[0:1]
	s_add_u32 s0, s0, .str.20@rel32@lo+4
	s_addc_u32 s1, s1, .str.20@rel32@hi+12
	s_getpc_b64 s[2:3]
	s_add_u32 s2, s2, .str.16@rel32@lo+4
	s_addc_u32 s3, s3, .str.16@rel32@hi+12
	s_getpc_b64 s[4:5]
	s_add_u32 s4, s4, __PRETTY_FUNCTION__._ZN3sop14minatoIsop5RecEjjiPNS_3SopEP7VecsMemIjLi8192EE@rel32@lo+4
	s_addc_u32 s5, s5, __PRETTY_FUNCTION__._ZN3sop14minatoIsop5RecEjjiPNS_3SopEP7VecsMemIjLi8192EE@rel32@hi+12
	s_getpc_b64 s[6:7]
	s_add_u32 s6, s6, __assert_fail@rel32@lo+4
	s_addc_u32 s7, s7, __assert_fail@rel32@hi+12
	s_mov_b64 s[8:9], s[34:35]
	v_mov_b32_e32 v0, s0
	v_mov_b32_e32 v1, s1
	;; [unrolled: 1-line block ×7, first 2 shown]
	s_swappc_b64 s[30:31], s[6:7]
	s_or_b64 s[40:41], s[40:41], exec
.LBB2_268:
	s_or_b64 exec, exec, s[24:25]
	s_andn2_b64 s[0:1], s[26:27], exec
	s_and_b64 s[4:5], s[40:41], exec
	s_and_b64 s[2:3], s[28:29], exec
	s_or_b64 s[26:27], s[0:1], s[4:5]
.LBB2_269:
	s_or_b64 exec, exec, s[22:23]
	s_and_b64 s[0:1], s[2:3], exec
	s_andn2_b64 s[2:3], s[52:53], exec
	s_and_b64 s[4:5], s[26:27], exec
	s_or_b64 s[52:53], s[2:3], s[4:5]
.LBB2_270:
	s_or_b64 exec, exec, s[54:55]
	s_and_b64 s[22:23], s[0:1], exec
	s_andn2_b64 s[0:1], s[36:37], exec
	s_and_b64 s[2:3], s[52:53], exec
	s_or_b64 s[24:25], s[0:1], s[2:3]
                                        ; implicit-def: $vgpr56_vgpr57
.LBB2_271:
	s_andn2_saveexec_b64 s[26:27], s[50:51]
	s_cbranch_execz .LBB2_415
; %bb.272:
	v_mov_b32_e32 v0, 0
	v_mov_b32_e32 v1, 1
	flat_store_dwordx2 v[46:47], v[0:1]
	flat_load_dword v2, v[56:57]
	s_movk_i32 s0, 0x2000
	s_mov_b64 s[28:29], s[22:23]
	s_waitcnt vmcnt(0) lgkmcnt(0)
	v_cmp_gt_i32_e32 vcc, s0, v2
	s_and_saveexec_b64 s[0:1], vcc
	s_xor_b64 s[0:1], exec, s[0:1]
	s_cbranch_execz .LBB2_274
; %bb.273:
	v_ashrrev_i32_e32 v3, 31, v2
	v_add_u32_e32 v1, 1, v2
	v_lshl_add_u64 v[2:3], v[2:3], 2, v[56:57]
	v_lshl_add_u64 v[4:5], v[2:3], 0, 4
	flat_store_dword v[56:57], v1
	flat_store_dwordx2 v[46:47], v[4:5] offset:8
	flat_store_dword v[2:3], v0 offset:4
	s_or_b64 s[28:29], s[22:23], exec
.LBB2_274:
	s_or_saveexec_b64 s[40:41], s[0:1]
	s_mov_b64 s[0:1], s[24:25]
	s_xor_b64 exec, exec, s[40:41]
	s_cbranch_execz .LBB2_414
; %bb.275:
	s_load_dwordx2 s[2:3], s[34:35], 0x50
	v_mbcnt_lo_u32_b32 v0, -1, 0
	v_mbcnt_hi_u32_b32 v32, -1, v0
	v_mov_b64_e32 v[4:5], 0
	v_readfirstlane_b32 s0, v32
	s_nop 1
	v_cmp_eq_u32_e64 s[0:1], s0, v32
	s_and_saveexec_b64 s[4:5], s[0:1]
	s_cbranch_execz .LBB2_281
; %bb.276:
	v_mov_b32_e32 v0, 0
	s_waitcnt lgkmcnt(0)
	global_load_dwordx2 v[6:7], v0, s[2:3] offset:24 sc0 sc1
	s_waitcnt vmcnt(0)
	buffer_inv sc0 sc1
	global_load_dwordx2 v[2:3], v0, s[2:3] offset:40
	global_load_dwordx2 v[4:5], v0, s[2:3]
	s_waitcnt vmcnt(1)
	v_and_b32_e32 v1, v2, v6
	v_and_b32_e32 v2, v3, v7
	v_mul_lo_u32 v2, v2, 24
	v_mul_hi_u32 v3, v1, 24
	v_add_u32_e32 v3, v3, v2
	v_mul_lo_u32 v2, v1, 24
	s_waitcnt vmcnt(0)
	v_lshl_add_u64 v[2:3], v[4:5], 0, v[2:3]
	global_load_dwordx2 v[4:5], v[2:3], off sc0 sc1
	s_waitcnt vmcnt(0)
	global_atomic_cmpswap_x2 v[4:5], v0, v[4:7], s[2:3] offset:24 sc0 sc1
	s_waitcnt vmcnt(0)
	buffer_inv sc0 sc1
	v_cmp_ne_u64_e32 vcc, v[4:5], v[6:7]
	s_and_saveexec_b64 s[6:7], vcc
	s_cbranch_execz .LBB2_280
; %bb.277:
	s_mov_b64 s[8:9], 0
.LBB2_278:                              ; =>This Inner Loop Header: Depth=1
	s_sleep 1
	global_load_dwordx2 v[2:3], v0, s[2:3] offset:40
	global_load_dwordx2 v[8:9], v0, s[2:3]
	v_mov_b64_e32 v[6:7], v[4:5]
	s_waitcnt vmcnt(1)
	v_and_b32_e32 v2, v2, v6
	v_and_b32_e32 v1, v3, v7
	s_waitcnt vmcnt(0)
	v_mad_u64_u32 v[2:3], s[10:11], v2, 24, v[8:9]
	v_mov_b32_e32 v4, v3
	v_mad_u64_u32 v[4:5], s[10:11], v1, 24, v[4:5]
	v_mov_b32_e32 v3, v4
	global_load_dwordx2 v[4:5], v[2:3], off sc0 sc1
	s_waitcnt vmcnt(0)
	global_atomic_cmpswap_x2 v[4:5], v0, v[4:7], s[2:3] offset:24 sc0 sc1
	s_waitcnt vmcnt(0)
	buffer_inv sc0 sc1
	v_cmp_eq_u64_e32 vcc, v[4:5], v[6:7]
	s_or_b64 s[8:9], vcc, s[8:9]
	s_andn2_b64 exec, exec, s[8:9]
	s_cbranch_execnz .LBB2_278
; %bb.279:
	s_or_b64 exec, exec, s[8:9]
.LBB2_280:
	s_or_b64 exec, exec, s[6:7]
.LBB2_281:
	s_or_b64 exec, exec, s[4:5]
	v_mov_b32_e32 v27, 0
	s_waitcnt lgkmcnt(0)
	global_load_dwordx2 v[6:7], v27, s[2:3] offset:40
	global_load_dwordx4 v[0:3], v27, s[2:3]
	v_readfirstlane_b32 s5, v5
	v_readfirstlane_b32 s4, v4
	s_mov_b64 s[6:7], exec
	s_waitcnt vmcnt(0)
	v_readfirstlane_b32 s8, v6
	v_readfirstlane_b32 s9, v7
	s_and_b64 s[8:9], s[8:9], s[4:5]
	s_mul_i32 s10, s9, 24
	s_mul_hi_u32 s11, s8, 24
	s_add_i32 s11, s11, s10
	s_mul_i32 s10, s8, 24
	v_lshl_add_u64 v[4:5], v[0:1], 0, s[10:11]
	s_and_saveexec_b64 s[10:11], s[0:1]
	s_cbranch_execz .LBB2_283
; %bb.282:
	v_mov_b64_e32 v[6:7], s[6:7]
	v_mov_b32_e32 v8, 2
	v_mov_b32_e32 v9, 1
	global_store_dwordx4 v[4:5], v[6:9], off offset:8
.LBB2_283:
	s_or_b64 exec, exec, s[10:11]
	s_lshl_b64 s[6:7], s[8:9], 12
	v_lshl_add_u64 v[6:7], v[2:3], 0, s[6:7]
	s_mov_b32 s8, 0
	v_lshlrev_b32_e32 v26, 6, v32
	v_mov_b32_e32 v8, 33
	v_mov_b32_e32 v9, v27
	;; [unrolled: 1-line block ×4, first 2 shown]
	v_readfirstlane_b32 s6, v6
	v_readfirstlane_b32 s7, v7
	s_mov_b32 s9, s8
	s_mov_b32 s10, s8
	;; [unrolled: 1-line block ×3, first 2 shown]
	s_nop 1
	global_store_dwordx4 v26, v[8:11], s[6:7]
	s_nop 1
	v_mov_b64_e32 v[8:9], s[8:9]
	v_mov_b64_e32 v[10:11], s[10:11]
	global_store_dwordx4 v26, v[8:11], s[6:7] offset:16
	global_store_dwordx4 v26, v[8:11], s[6:7] offset:32
	;; [unrolled: 1-line block ×3, first 2 shown]
	s_and_saveexec_b64 s[6:7], s[0:1]
	s_cbranch_execz .LBB2_291
; %bb.284:
	v_mov_b32_e32 v10, 0
	global_load_dwordx2 v[14:15], v10, s[2:3] offset:32 sc0 sc1
	global_load_dwordx2 v[2:3], v10, s[2:3] offset:40
	v_mov_b32_e32 v12, s4
	v_mov_b32_e32 v13, s5
	s_waitcnt vmcnt(0)
	v_and_b32_e32 v2, s4, v2
	v_and_b32_e32 v3, s5, v3
	v_mul_lo_u32 v3, v3, 24
	v_mul_hi_u32 v8, v2, 24
	v_mul_lo_u32 v2, v2, 24
	v_add_u32_e32 v3, v8, v3
	v_lshl_add_u64 v[8:9], v[0:1], 0, v[2:3]
	global_store_dwordx2 v[8:9], v[14:15], off
	buffer_wbl2 sc0 sc1
	s_waitcnt vmcnt(0)
	global_atomic_cmpswap_x2 v[2:3], v10, v[12:15], s[2:3] offset:32 sc0 sc1
	s_waitcnt vmcnt(0)
	v_cmp_ne_u64_e32 vcc, v[2:3], v[14:15]
	s_and_saveexec_b64 s[8:9], vcc
	s_cbranch_execz .LBB2_287
; %bb.285:
	s_mov_b64 s[10:11], 0
.LBB2_286:                              ; =>This Inner Loop Header: Depth=1
	s_sleep 1
	global_store_dwordx2 v[8:9], v[2:3], off
	v_mov_b32_e32 v0, s4
	v_mov_b32_e32 v1, s5
	buffer_wbl2 sc0 sc1
	s_waitcnt vmcnt(0)
	global_atomic_cmpswap_x2 v[0:1], v10, v[0:3], s[2:3] offset:32 sc0 sc1
	s_waitcnt vmcnt(0)
	v_cmp_eq_u64_e32 vcc, v[0:1], v[2:3]
	s_or_b64 s[10:11], vcc, s[10:11]
	v_mov_b64_e32 v[2:3], v[0:1]
	s_andn2_b64 exec, exec, s[10:11]
	s_cbranch_execnz .LBB2_286
.LBB2_287:
	s_or_b64 exec, exec, s[8:9]
	v_mov_b32_e32 v3, 0
	global_load_dwordx2 v[0:1], v3, s[2:3] offset:16
	s_mov_b64 s[8:9], exec
	v_mbcnt_lo_u32_b32 v2, s8, 0
	v_mbcnt_hi_u32_b32 v2, s9, v2
	v_cmp_eq_u32_e32 vcc, 0, v2
	s_and_saveexec_b64 s[10:11], vcc
	s_cbranch_execz .LBB2_289
; %bb.288:
	s_bcnt1_i32_b64 s8, s[8:9]
	v_mov_b32_e32 v2, s8
	buffer_wbl2 sc0 sc1
	s_waitcnt vmcnt(0)
	global_atomic_add_x2 v[0:1], v[2:3], off offset:8 sc1
.LBB2_289:
	s_or_b64 exec, exec, s[10:11]
	s_waitcnt vmcnt(0)
	global_load_dwordx2 v[2:3], v[0:1], off offset:16
	s_waitcnt vmcnt(0)
	v_cmp_eq_u64_e32 vcc, 0, v[2:3]
	s_cbranch_vccnz .LBB2_291
; %bb.290:
	global_load_dword v0, v[0:1], off offset:24
	v_mov_b32_e32 v1, 0
	s_waitcnt vmcnt(0)
	v_readfirstlane_b32 s8, v0
	s_and_b32 m0, s8, 0xffffff
	buffer_wbl2 sc0 sc1
	global_store_dwordx2 v[2:3], v[0:1], off sc0 sc1
	s_sendmsg sendmsg(MSG_INTERRUPT)
.LBB2_291:
	s_or_b64 exec, exec, s[6:7]
	v_lshl_add_u64 v[0:1], v[6:7], 0, v[26:27]
	s_branch .LBB2_293
.LBB2_292:
	s_branch .LBB2_297
.LBB2_293:                              ; =>This Inner Loop Header: Depth=1
	v_mov_b32_e32 v2, 1
	s_and_saveexec_b64 s[6:7], s[0:1]
	s_cbranch_execz .LBB2_295
; %bb.294:                              ;   in Loop: Header=BB2_293 Depth=1
	global_load_dword v2, v[4:5], off offset:20 sc0 sc1
	s_waitcnt vmcnt(0)
	buffer_inv sc0 sc1
	v_and_b32_e32 v2, 1, v2
.LBB2_295:                              ;   in Loop: Header=BB2_293 Depth=1
	s_or_b64 exec, exec, s[6:7]
	v_readfirstlane_b32 s6, v2
	s_cmp_eq_u32 s6, 0
	s_cbranch_scc1 .LBB2_292
; %bb.296:                              ;   in Loop: Header=BB2_293 Depth=1
	s_sleep 1
	s_cbranch_execnz .LBB2_293
.LBB2_297:
	global_load_dwordx2 v[0:1], v[0:1], off
	s_and_saveexec_b64 s[6:7], s[0:1]
	s_cbranch_execz .LBB2_300
; %bb.298:
	v_mov_b32_e32 v8, 0
	global_load_dwordx2 v[2:3], v8, s[2:3] offset:40
	global_load_dwordx2 v[12:13], v8, s[2:3] offset:24 sc0 sc1
	global_load_dwordx2 v[4:5], v8, s[2:3]
	s_waitcnt vmcnt(2)
	v_readfirstlane_b32 s8, v2
	v_readfirstlane_b32 s9, v3
	s_add_u32 s10, s8, 1
	s_addc_u32 s11, s9, 0
	s_add_u32 s0, s10, s4
	s_addc_u32 s1, s11, s5
	s_cmp_eq_u64 s[0:1], 0
	s_cselect_b32 s1, s11, s1
	s_cselect_b32 s0, s10, s0
	s_and_b64 s[4:5], s[0:1], s[8:9]
	s_mul_i32 s5, s5, 24
	s_mul_hi_u32 s8, s4, 24
	s_mul_i32 s4, s4, 24
	s_add_i32 s5, s8, s5
	s_waitcnt vmcnt(0)
	v_lshl_add_u64 v[6:7], v[4:5], 0, s[4:5]
	v_mov_b32_e32 v10, s0
	global_store_dwordx2 v[6:7], v[12:13], off
	v_mov_b32_e32 v11, s1
	buffer_wbl2 sc0 sc1
	s_waitcnt vmcnt(0)
	global_atomic_cmpswap_x2 v[4:5], v8, v[10:13], s[2:3] offset:24 sc0 sc1
	s_mov_b64 s[4:5], 0
	s_waitcnt vmcnt(0)
	v_cmp_ne_u64_e32 vcc, v[4:5], v[12:13]
	s_and_b64 exec, exec, vcc
	s_cbranch_execz .LBB2_300
.LBB2_299:                              ; =>This Inner Loop Header: Depth=1
	s_sleep 1
	global_store_dwordx2 v[6:7], v[4:5], off
	v_mov_b32_e32 v2, s0
	v_mov_b32_e32 v3, s1
	buffer_wbl2 sc0 sc1
	s_waitcnt vmcnt(0)
	global_atomic_cmpswap_x2 v[2:3], v8, v[2:5], s[2:3] offset:24 sc0 sc1
	s_waitcnt vmcnt(0)
	v_cmp_eq_u64_e32 vcc, v[2:3], v[4:5]
	s_or_b64 s[4:5], vcc, s[4:5]
	v_mov_b64_e32 v[4:5], v[2:3]
	s_andn2_b64 exec, exec, s[4:5]
	s_cbranch_execnz .LBB2_299
.LBB2_300:
	s_or_b64 exec, exec, s[6:7]
	s_getpc_b64 s[4:5]
	s_add_u32 s4, s4, .str.28@rel32@lo+4
	s_addc_u32 s5, s5, .str.28@rel32@hi+12
	s_cmp_lg_u64 s[4:5], 0
	s_cbranch_scc0 .LBB2_386
; %bb.301:
	s_waitcnt vmcnt(0)
	v_and_b32_e32 v6, -3, v0
	v_mov_b32_e32 v7, v1
	s_mov_b64 s[6:7], 35
	v_mov_b32_e32 v29, 0
	v_mov_b32_e32 v4, 2
	;; [unrolled: 1-line block ×3, first 2 shown]
	s_branch .LBB2_303
.LBB2_302:                              ;   in Loop: Header=BB2_303 Depth=1
	s_or_b64 exec, exec, s[12:13]
	s_sub_u32 s6, s6, s8
	s_subb_u32 s7, s7, s9
	s_add_u32 s4, s4, s8
	s_addc_u32 s5, s5, s9
	s_cmp_lg_u64 s[6:7], 0
	s_cbranch_scc0 .LBB2_385
.LBB2_303:                              ; =>This Loop Header: Depth=1
                                        ;     Child Loop BB2_306 Depth 2
                                        ;     Child Loop BB2_314 Depth 2
	;; [unrolled: 1-line block ×11, first 2 shown]
	v_cmp_lt_u64_e64 s[0:1], s[6:7], 56
	s_and_b64 s[0:1], s[0:1], exec
	s_cselect_b32 s9, s7, 0
	s_cselect_b32 s8, s6, 56
	v_cmp_gt_u64_e64 s[10:11], s[6:7], 7
	s_add_u32 s0, s4, 8
	s_addc_u32 s1, s5, 0
	s_and_b64 vcc, exec, s[10:11]
	s_cbranch_vccnz .LBB2_307
; %bb.304:                              ;   in Loop: Header=BB2_303 Depth=1
	s_cmp_eq_u64 s[6:7], 0
	s_cbranch_scc1 .LBB2_308
; %bb.305:                              ;   in Loop: Header=BB2_303 Depth=1
	s_lshl_b64 s[0:1], s[8:9], 3
	s_mov_b64 s[10:11], 0
	s_waitcnt vmcnt(0)
	v_mov_b64_e32 v[8:9], 0
	s_mov_b64 s[12:13], s[4:5]
.LBB2_306:                              ;   Parent Loop BB2_303 Depth=1
                                        ; =>  This Inner Loop Header: Depth=2
	global_load_ubyte v2, v29, s[12:13]
	s_waitcnt vmcnt(0)
	v_and_b32_e32 v28, 0xffff, v2
	v_lshlrev_b64 v[2:3], s10, v[28:29]
	s_add_u32 s10, s10, 8
	s_addc_u32 s11, s11, 0
	s_add_u32 s12, s12, 1
	s_addc_u32 s13, s13, 0
	v_or_b32_e32 v8, v2, v8
	s_cmp_lg_u32 s0, s10
	v_or_b32_e32 v9, v3, v9
	s_cbranch_scc1 .LBB2_306
	s_branch .LBB2_309
.LBB2_307:                              ;   in Loop: Header=BB2_303 Depth=1
	s_mov_b32 s14, 0
	s_branch .LBB2_310
.LBB2_308:                              ;   in Loop: Header=BB2_303 Depth=1
	s_waitcnt vmcnt(0)
	v_mov_b64_e32 v[8:9], 0
.LBB2_309:                              ;   in Loop: Header=BB2_303 Depth=1
	s_mov_b64 s[0:1], s[4:5]
	s_mov_b32 s14, 0
	s_cbranch_execnz .LBB2_311
.LBB2_310:                              ;   in Loop: Header=BB2_303 Depth=1
	global_load_dwordx2 v[8:9], v29, s[4:5]
	s_add_i32 s14, s8, -8
.LBB2_311:                              ;   in Loop: Header=BB2_303 Depth=1
	s_add_u32 s10, s0, 8
	s_addc_u32 s11, s1, 0
	s_cmp_gt_u32 s14, 7
	s_cbranch_scc1 .LBB2_315
; %bb.312:                              ;   in Loop: Header=BB2_303 Depth=1
	s_cmp_eq_u32 s14, 0
	s_cbranch_scc1 .LBB2_316
; %bb.313:                              ;   in Loop: Header=BB2_303 Depth=1
	s_mov_b64 s[10:11], 0
	v_mov_b64_e32 v[10:11], 0
	s_mov_b64 s[12:13], 0
.LBB2_314:                              ;   Parent Loop BB2_303 Depth=1
                                        ; =>  This Inner Loop Header: Depth=2
	s_add_u32 s16, s0, s12
	s_addc_u32 s17, s1, s13
	global_load_ubyte v2, v29, s[16:17]
	s_add_u32 s12, s12, 1
	s_addc_u32 s13, s13, 0
	s_waitcnt vmcnt(0)
	v_and_b32_e32 v28, 0xffff, v2
	v_lshlrev_b64 v[2:3], s10, v[28:29]
	s_add_u32 s10, s10, 8
	s_addc_u32 s11, s11, 0
	v_or_b32_e32 v10, v2, v10
	s_cmp_lg_u32 s14, s12
	v_or_b32_e32 v11, v3, v11
	s_cbranch_scc1 .LBB2_314
	s_branch .LBB2_317
.LBB2_315:                              ;   in Loop: Header=BB2_303 Depth=1
                                        ; implicit-def: $vgpr10_vgpr11
	s_mov_b32 s15, 0
	s_branch .LBB2_318
.LBB2_316:                              ;   in Loop: Header=BB2_303 Depth=1
	v_mov_b64_e32 v[10:11], 0
.LBB2_317:                              ;   in Loop: Header=BB2_303 Depth=1
	s_mov_b64 s[10:11], s[0:1]
	s_mov_b32 s15, 0
	s_cbranch_execnz .LBB2_319
.LBB2_318:                              ;   in Loop: Header=BB2_303 Depth=1
	global_load_dwordx2 v[10:11], v29, s[0:1]
	s_add_i32 s15, s14, -8
.LBB2_319:                              ;   in Loop: Header=BB2_303 Depth=1
	s_add_u32 s0, s10, 8
	s_addc_u32 s1, s11, 0
	s_cmp_gt_u32 s15, 7
	s_cbranch_scc1 .LBB2_323
; %bb.320:                              ;   in Loop: Header=BB2_303 Depth=1
	s_cmp_eq_u32 s15, 0
	s_cbranch_scc1 .LBB2_324
; %bb.321:                              ;   in Loop: Header=BB2_303 Depth=1
	s_mov_b64 s[0:1], 0
	v_mov_b64_e32 v[12:13], 0
	s_mov_b64 s[12:13], 0
.LBB2_322:                              ;   Parent Loop BB2_303 Depth=1
                                        ; =>  This Inner Loop Header: Depth=2
	s_add_u32 s16, s10, s12
	s_addc_u32 s17, s11, s13
	global_load_ubyte v2, v29, s[16:17]
	s_add_u32 s12, s12, 1
	s_addc_u32 s13, s13, 0
	s_waitcnt vmcnt(0)
	v_and_b32_e32 v28, 0xffff, v2
	v_lshlrev_b64 v[2:3], s0, v[28:29]
	s_add_u32 s0, s0, 8
	s_addc_u32 s1, s1, 0
	v_or_b32_e32 v12, v2, v12
	s_cmp_lg_u32 s15, s12
	v_or_b32_e32 v13, v3, v13
	s_cbranch_scc1 .LBB2_322
	s_branch .LBB2_325
.LBB2_323:                              ;   in Loop: Header=BB2_303 Depth=1
	s_mov_b32 s14, 0
	s_branch .LBB2_326
.LBB2_324:                              ;   in Loop: Header=BB2_303 Depth=1
	v_mov_b64_e32 v[12:13], 0
.LBB2_325:                              ;   in Loop: Header=BB2_303 Depth=1
	s_mov_b64 s[0:1], s[10:11]
	s_mov_b32 s14, 0
	s_cbranch_execnz .LBB2_327
.LBB2_326:                              ;   in Loop: Header=BB2_303 Depth=1
	global_load_dwordx2 v[12:13], v29, s[10:11]
	s_add_i32 s14, s15, -8
.LBB2_327:                              ;   in Loop: Header=BB2_303 Depth=1
	s_add_u32 s10, s0, 8
	s_addc_u32 s11, s1, 0
	s_cmp_gt_u32 s14, 7
	s_cbranch_scc1 .LBB2_331
; %bb.328:                              ;   in Loop: Header=BB2_303 Depth=1
	s_cmp_eq_u32 s14, 0
	s_cbranch_scc1 .LBB2_332
; %bb.329:                              ;   in Loop: Header=BB2_303 Depth=1
	s_mov_b64 s[10:11], 0
	v_mov_b64_e32 v[14:15], 0
	s_mov_b64 s[12:13], 0
.LBB2_330:                              ;   Parent Loop BB2_303 Depth=1
                                        ; =>  This Inner Loop Header: Depth=2
	s_add_u32 s16, s0, s12
	s_addc_u32 s17, s1, s13
	global_load_ubyte v2, v29, s[16:17]
	s_add_u32 s12, s12, 1
	s_addc_u32 s13, s13, 0
	s_waitcnt vmcnt(0)
	v_and_b32_e32 v28, 0xffff, v2
	v_lshlrev_b64 v[2:3], s10, v[28:29]
	s_add_u32 s10, s10, 8
	s_addc_u32 s11, s11, 0
	v_or_b32_e32 v14, v2, v14
	s_cmp_lg_u32 s14, s12
	v_or_b32_e32 v15, v3, v15
	s_cbranch_scc1 .LBB2_330
	s_branch .LBB2_333
.LBB2_331:                              ;   in Loop: Header=BB2_303 Depth=1
                                        ; implicit-def: $vgpr14_vgpr15
	s_mov_b32 s15, 0
	s_branch .LBB2_334
.LBB2_332:                              ;   in Loop: Header=BB2_303 Depth=1
	v_mov_b64_e32 v[14:15], 0
.LBB2_333:                              ;   in Loop: Header=BB2_303 Depth=1
	s_mov_b64 s[10:11], s[0:1]
	s_mov_b32 s15, 0
	s_cbranch_execnz .LBB2_335
.LBB2_334:                              ;   in Loop: Header=BB2_303 Depth=1
	global_load_dwordx2 v[14:15], v29, s[0:1]
	s_add_i32 s15, s14, -8
.LBB2_335:                              ;   in Loop: Header=BB2_303 Depth=1
	s_add_u32 s0, s10, 8
	s_addc_u32 s1, s11, 0
	s_cmp_gt_u32 s15, 7
	s_cbranch_scc1 .LBB2_339
; %bb.336:                              ;   in Loop: Header=BB2_303 Depth=1
	s_cmp_eq_u32 s15, 0
	s_cbranch_scc1 .LBB2_340
; %bb.337:                              ;   in Loop: Header=BB2_303 Depth=1
	s_mov_b64 s[0:1], 0
	v_mov_b64_e32 v[16:17], 0
	s_mov_b64 s[12:13], 0
.LBB2_338:                              ;   Parent Loop BB2_303 Depth=1
                                        ; =>  This Inner Loop Header: Depth=2
	s_add_u32 s16, s10, s12
	s_addc_u32 s17, s11, s13
	global_load_ubyte v2, v29, s[16:17]
	s_add_u32 s12, s12, 1
	s_addc_u32 s13, s13, 0
	s_waitcnt vmcnt(0)
	v_and_b32_e32 v28, 0xffff, v2
	v_lshlrev_b64 v[2:3], s0, v[28:29]
	s_add_u32 s0, s0, 8
	s_addc_u32 s1, s1, 0
	v_or_b32_e32 v16, v2, v16
	s_cmp_lg_u32 s15, s12
	v_or_b32_e32 v17, v3, v17
	s_cbranch_scc1 .LBB2_338
	s_branch .LBB2_341
.LBB2_339:                              ;   in Loop: Header=BB2_303 Depth=1
	s_mov_b32 s14, 0
	s_branch .LBB2_342
.LBB2_340:                              ;   in Loop: Header=BB2_303 Depth=1
	v_mov_b64_e32 v[16:17], 0
.LBB2_341:                              ;   in Loop: Header=BB2_303 Depth=1
	s_mov_b64 s[0:1], s[10:11]
	s_mov_b32 s14, 0
	s_cbranch_execnz .LBB2_343
.LBB2_342:                              ;   in Loop: Header=BB2_303 Depth=1
	global_load_dwordx2 v[16:17], v29, s[10:11]
	s_add_i32 s14, s15, -8
.LBB2_343:                              ;   in Loop: Header=BB2_303 Depth=1
	s_add_u32 s10, s0, 8
	s_addc_u32 s11, s1, 0
	s_cmp_gt_u32 s14, 7
	s_cbranch_scc1 .LBB2_347
; %bb.344:                              ;   in Loop: Header=BB2_303 Depth=1
	s_cmp_eq_u32 s14, 0
	s_cbranch_scc1 .LBB2_348
; %bb.345:                              ;   in Loop: Header=BB2_303 Depth=1
	s_mov_b64 s[10:11], 0
	v_mov_b64_e32 v[18:19], 0
	s_mov_b64 s[12:13], 0
.LBB2_346:                              ;   Parent Loop BB2_303 Depth=1
                                        ; =>  This Inner Loop Header: Depth=2
	s_add_u32 s16, s0, s12
	s_addc_u32 s17, s1, s13
	global_load_ubyte v2, v29, s[16:17]
	s_add_u32 s12, s12, 1
	s_addc_u32 s13, s13, 0
	s_waitcnt vmcnt(0)
	v_and_b32_e32 v28, 0xffff, v2
	v_lshlrev_b64 v[2:3], s10, v[28:29]
	s_add_u32 s10, s10, 8
	s_addc_u32 s11, s11, 0
	v_or_b32_e32 v18, v2, v18
	s_cmp_lg_u32 s14, s12
	v_or_b32_e32 v19, v3, v19
	s_cbranch_scc1 .LBB2_346
	s_branch .LBB2_349
.LBB2_347:                              ;   in Loop: Header=BB2_303 Depth=1
                                        ; implicit-def: $vgpr18_vgpr19
	s_mov_b32 s15, 0
	s_branch .LBB2_350
.LBB2_348:                              ;   in Loop: Header=BB2_303 Depth=1
	v_mov_b64_e32 v[18:19], 0
.LBB2_349:                              ;   in Loop: Header=BB2_303 Depth=1
	s_mov_b64 s[10:11], s[0:1]
	s_mov_b32 s15, 0
	s_cbranch_execnz .LBB2_351
.LBB2_350:                              ;   in Loop: Header=BB2_303 Depth=1
	global_load_dwordx2 v[18:19], v29, s[0:1]
	s_add_i32 s15, s14, -8
.LBB2_351:                              ;   in Loop: Header=BB2_303 Depth=1
	s_cmp_gt_u32 s15, 7
	s_cbranch_scc1 .LBB2_383
; %bb.352:                              ;   in Loop: Header=BB2_303 Depth=1
	s_cmp_eq_u32 s15, 0
	s_cbranch_scc1 .LBB2_384
; %bb.353:                              ;   in Loop: Header=BB2_303 Depth=1
	s_mov_b64 s[0:1], 0
	v_mov_b64_e32 v[20:21], 0
	s_mov_b64 s[12:13], s[10:11]
.LBB2_354:                              ;   Parent Loop BB2_303 Depth=1
                                        ; =>  This Inner Loop Header: Depth=2
	global_load_ubyte v2, v29, s[12:13]
	s_add_i32 s15, s15, -1
	s_waitcnt vmcnt(0)
	v_and_b32_e32 v28, 0xffff, v2
	v_lshlrev_b64 v[2:3], s0, v[28:29]
	s_add_u32 s0, s0, 8
	s_addc_u32 s1, s1, 0
	s_add_u32 s12, s12, 1
	s_addc_u32 s13, s13, 0
	v_or_b32_e32 v20, v2, v20
	s_cmp_lg_u32 s15, 0
	v_or_b32_e32 v21, v3, v21
	s_cbranch_scc1 .LBB2_354
; %bb.355:                              ;   in Loop: Header=BB2_303 Depth=1
	s_cbranch_execnz .LBB2_357
.LBB2_356:                              ;   in Loop: Header=BB2_303 Depth=1
	global_load_dwordx2 v[20:21], v29, s[10:11]
.LBB2_357:                              ;   in Loop: Header=BB2_303 Depth=1
	v_readfirstlane_b32 s0, v32
	v_mov_b64_e32 v[2:3], 0
	s_nop 0
	v_cmp_eq_u32_e64 s[0:1], s0, v32
	s_and_saveexec_b64 s[10:11], s[0:1]
	s_cbranch_execz .LBB2_363
; %bb.358:                              ;   in Loop: Header=BB2_303 Depth=1
	global_load_dwordx2 v[24:25], v29, s[2:3] offset:24 sc0 sc1
	s_waitcnt vmcnt(0)
	buffer_inv sc0 sc1
	global_load_dwordx2 v[2:3], v29, s[2:3] offset:40
	global_load_dwordx2 v[22:23], v29, s[2:3]
	s_waitcnt vmcnt(1)
	v_and_b32_e32 v2, v2, v24
	v_and_b32_e32 v3, v3, v25
	v_mul_lo_u32 v3, v3, 24
	v_mul_hi_u32 v27, v2, 24
	v_add_u32_e32 v3, v27, v3
	v_mul_lo_u32 v2, v2, 24
	s_waitcnt vmcnt(0)
	v_lshl_add_u64 v[2:3], v[22:23], 0, v[2:3]
	global_load_dwordx2 v[22:23], v[2:3], off sc0 sc1
	s_waitcnt vmcnt(0)
	global_atomic_cmpswap_x2 v[2:3], v29, v[22:25], s[2:3] offset:24 sc0 sc1
	s_waitcnt vmcnt(0)
	buffer_inv sc0 sc1
	v_cmp_ne_u64_e32 vcc, v[2:3], v[24:25]
	s_and_saveexec_b64 s[12:13], vcc
	s_cbranch_execz .LBB2_362
; %bb.359:                              ;   in Loop: Header=BB2_303 Depth=1
	s_mov_b64 s[14:15], 0
.LBB2_360:                              ;   Parent Loop BB2_303 Depth=1
                                        ; =>  This Inner Loop Header: Depth=2
	s_sleep 1
	global_load_dwordx2 v[22:23], v29, s[2:3] offset:40
	global_load_dwordx2 v[30:31], v29, s[2:3]
	v_mov_b64_e32 v[24:25], v[2:3]
	s_waitcnt vmcnt(1)
	v_and_b32_e32 v2, v22, v24
	s_waitcnt vmcnt(0)
	v_mad_u64_u32 v[2:3], s[16:17], v2, 24, v[30:31]
	v_and_b32_e32 v23, v23, v25
	v_mov_b32_e32 v22, v3
	v_mad_u64_u32 v[22:23], s[16:17], v23, 24, v[22:23]
	v_mov_b32_e32 v3, v22
	global_load_dwordx2 v[22:23], v[2:3], off sc0 sc1
	s_waitcnt vmcnt(0)
	global_atomic_cmpswap_x2 v[2:3], v29, v[22:25], s[2:3] offset:24 sc0 sc1
	s_waitcnt vmcnt(0)
	buffer_inv sc0 sc1
	v_cmp_eq_u64_e32 vcc, v[2:3], v[24:25]
	s_or_b64 s[14:15], vcc, s[14:15]
	s_andn2_b64 exec, exec, s[14:15]
	s_cbranch_execnz .LBB2_360
; %bb.361:                              ;   in Loop: Header=BB2_303 Depth=1
	s_or_b64 exec, exec, s[14:15]
.LBB2_362:                              ;   in Loop: Header=BB2_303 Depth=1
	s_or_b64 exec, exec, s[12:13]
.LBB2_363:                              ;   in Loop: Header=BB2_303 Depth=1
	s_or_b64 exec, exec, s[10:11]
	global_load_dwordx2 v[30:31], v29, s[2:3] offset:40
	global_load_dwordx4 v[22:25], v29, s[2:3]
	v_readfirstlane_b32 s11, v3
	v_readfirstlane_b32 s10, v2
	s_mov_b64 s[12:13], exec
	s_waitcnt vmcnt(1)
	v_readfirstlane_b32 s14, v30
	v_readfirstlane_b32 s15, v31
	s_and_b64 s[14:15], s[14:15], s[10:11]
	s_mul_i32 s16, s15, 24
	s_mul_hi_u32 s17, s14, 24
	s_add_i32 s17, s17, s16
	s_mul_i32 s16, s14, 24
	s_waitcnt vmcnt(0)
	v_lshl_add_u64 v[30:31], v[22:23], 0, s[16:17]
	s_and_saveexec_b64 s[16:17], s[0:1]
	s_cbranch_execz .LBB2_365
; %bb.364:                              ;   in Loop: Header=BB2_303 Depth=1
	v_mov_b64_e32 v[2:3], s[12:13]
	global_store_dwordx4 v[30:31], v[2:5], off offset:8
.LBB2_365:                              ;   in Loop: Header=BB2_303 Depth=1
	s_or_b64 exec, exec, s[16:17]
	s_lshl_b64 s[12:13], s[14:15], 12
	v_lshl_add_u64 v[2:3], v[24:25], 0, s[12:13]
	v_cmp_gt_u64_e64 s[12:13], s[6:7], 56
	s_and_b64 s[12:13], s[12:13], exec
	s_cselect_b32 s12, 0, 2
	s_lshl_b32 s13, s8, 2
	s_add_i32 s13, s13, 28
	v_and_b32_e32 v6, 0xffffff1f, v6
	s_and_b32 s13, s13, 0x1e0
	v_or_b32_e32 v6, s12, v6
	v_or_b32_e32 v6, s13, v6
	v_readfirstlane_b32 s12, v2
	v_readfirstlane_b32 s13, v3
	s_nop 4
	global_store_dwordx4 v26, v[6:9], s[12:13]
	global_store_dwordx4 v26, v[10:13], s[12:13] offset:16
	global_store_dwordx4 v26, v[14:17], s[12:13] offset:32
	;; [unrolled: 1-line block ×3, first 2 shown]
	s_and_saveexec_b64 s[12:13], s[0:1]
	s_cbranch_execz .LBB2_373
; %bb.366:                              ;   in Loop: Header=BB2_303 Depth=1
	global_load_dwordx2 v[14:15], v29, s[2:3] offset:32 sc0 sc1
	global_load_dwordx2 v[6:7], v29, s[2:3] offset:40
	v_mov_b32_e32 v12, s10
	v_mov_b32_e32 v13, s11
	s_waitcnt vmcnt(0)
	v_readfirstlane_b32 s14, v6
	v_readfirstlane_b32 s15, v7
	s_and_b64 s[14:15], s[14:15], s[10:11]
	s_mul_i32 s15, s15, 24
	s_mul_hi_u32 s16, s14, 24
	s_mul_i32 s14, s14, 24
	s_add_i32 s15, s16, s15
	v_lshl_add_u64 v[10:11], v[22:23], 0, s[14:15]
	global_store_dwordx2 v[10:11], v[14:15], off
	buffer_wbl2 sc0 sc1
	s_waitcnt vmcnt(0)
	global_atomic_cmpswap_x2 v[8:9], v29, v[12:15], s[2:3] offset:32 sc0 sc1
	s_waitcnt vmcnt(0)
	v_cmp_ne_u64_e32 vcc, v[8:9], v[14:15]
	s_and_saveexec_b64 s[14:15], vcc
	s_cbranch_execz .LBB2_369
; %bb.367:                              ;   in Loop: Header=BB2_303 Depth=1
	s_mov_b64 s[16:17], 0
.LBB2_368:                              ;   Parent Loop BB2_303 Depth=1
                                        ; =>  This Inner Loop Header: Depth=2
	s_sleep 1
	global_store_dwordx2 v[10:11], v[8:9], off
	v_mov_b32_e32 v6, s10
	v_mov_b32_e32 v7, s11
	buffer_wbl2 sc0 sc1
	s_waitcnt vmcnt(0)
	global_atomic_cmpswap_x2 v[6:7], v29, v[6:9], s[2:3] offset:32 sc0 sc1
	s_waitcnt vmcnt(0)
	v_cmp_eq_u64_e32 vcc, v[6:7], v[8:9]
	s_or_b64 s[16:17], vcc, s[16:17]
	v_mov_b64_e32 v[8:9], v[6:7]
	s_andn2_b64 exec, exec, s[16:17]
	s_cbranch_execnz .LBB2_368
.LBB2_369:                              ;   in Loop: Header=BB2_303 Depth=1
	s_or_b64 exec, exec, s[14:15]
	global_load_dwordx2 v[6:7], v29, s[2:3] offset:16
	s_mov_b64 s[16:17], exec
	v_mbcnt_lo_u32_b32 v8, s16, 0
	v_mbcnt_hi_u32_b32 v8, s17, v8
	v_cmp_eq_u32_e32 vcc, 0, v8
	s_and_saveexec_b64 s[14:15], vcc
	s_cbranch_execz .LBB2_371
; %bb.370:                              ;   in Loop: Header=BB2_303 Depth=1
	s_bcnt1_i32_b64 s16, s[16:17]
	v_mov_b32_e32 v28, s16
	buffer_wbl2 sc0 sc1
	s_waitcnt vmcnt(0)
	global_atomic_add_x2 v[6:7], v[28:29], off offset:8 sc1
.LBB2_371:                              ;   in Loop: Header=BB2_303 Depth=1
	s_or_b64 exec, exec, s[14:15]
	s_waitcnt vmcnt(0)
	global_load_dwordx2 v[8:9], v[6:7], off offset:16
	s_waitcnt vmcnt(0)
	v_cmp_eq_u64_e32 vcc, 0, v[8:9]
	s_cbranch_vccnz .LBB2_373
; %bb.372:                              ;   in Loop: Header=BB2_303 Depth=1
	global_load_dword v28, v[6:7], off offset:24
	s_waitcnt vmcnt(0)
	v_readfirstlane_b32 s14, v28
	s_and_b32 m0, s14, 0xffffff
	buffer_wbl2 sc0 sc1
	global_store_dwordx2 v[8:9], v[28:29], off sc0 sc1
	s_sendmsg sendmsg(MSG_INTERRUPT)
.LBB2_373:                              ;   in Loop: Header=BB2_303 Depth=1
	s_or_b64 exec, exec, s[12:13]
	v_mov_b32_e32 v27, v29
	v_lshl_add_u64 v[2:3], v[2:3], 0, v[26:27]
	s_branch .LBB2_375
.LBB2_374:                              ;   in Loop: Header=BB2_303 Depth=1
	s_branch .LBB2_379
.LBB2_375:                              ;   Parent Loop BB2_303 Depth=1
                                        ; =>  This Inner Loop Header: Depth=2
	v_mov_b32_e32 v6, 1
	s_and_saveexec_b64 s[12:13], s[0:1]
	s_cbranch_execz .LBB2_377
; %bb.376:                              ;   in Loop: Header=BB2_375 Depth=2
	global_load_dword v6, v[30:31], off offset:20 sc0 sc1
	s_waitcnt vmcnt(0)
	buffer_inv sc0 sc1
	v_and_b32_e32 v6, 1, v6
.LBB2_377:                              ;   in Loop: Header=BB2_375 Depth=2
	s_or_b64 exec, exec, s[12:13]
	v_readfirstlane_b32 s12, v6
	s_cmp_eq_u32 s12, 0
	s_cbranch_scc1 .LBB2_374
; %bb.378:                              ;   in Loop: Header=BB2_375 Depth=2
	s_sleep 1
	s_cbranch_execnz .LBB2_375
.LBB2_379:                              ;   in Loop: Header=BB2_303 Depth=1
	global_load_dwordx4 v[6:9], v[2:3], off
	s_and_saveexec_b64 s[12:13], s[0:1]
	s_cbranch_execz .LBB2_302
; %bb.380:                              ;   in Loop: Header=BB2_303 Depth=1
	global_load_dwordx2 v[2:3], v29, s[2:3] offset:40
	global_load_dwordx2 v[12:13], v29, s[2:3] offset:24 sc0 sc1
	global_load_dwordx2 v[8:9], v29, s[2:3]
	s_waitcnt vmcnt(2)
	v_readfirstlane_b32 s14, v2
	v_readfirstlane_b32 s15, v3
	s_add_u32 s16, s14, 1
	s_addc_u32 s17, s15, 0
	s_add_u32 s0, s16, s10
	s_addc_u32 s1, s17, s11
	s_cmp_eq_u64 s[0:1], 0
	s_cselect_b32 s1, s17, s1
	s_cselect_b32 s0, s16, s0
	s_and_b64 s[10:11], s[0:1], s[14:15]
	s_mul_i32 s11, s11, 24
	s_mul_hi_u32 s14, s10, 24
	s_mul_i32 s10, s10, 24
	s_add_i32 s11, s14, s11
	s_waitcnt vmcnt(0)
	v_lshl_add_u64 v[2:3], v[8:9], 0, s[10:11]
	v_mov_b32_e32 v10, s0
	global_store_dwordx2 v[2:3], v[12:13], off
	v_mov_b32_e32 v11, s1
	buffer_wbl2 sc0 sc1
	s_waitcnt vmcnt(0)
	global_atomic_cmpswap_x2 v[10:11], v29, v[10:13], s[2:3] offset:24 sc0 sc1
	s_waitcnt vmcnt(0)
	v_cmp_ne_u64_e32 vcc, v[10:11], v[12:13]
	s_and_b64 exec, exec, vcc
	s_cbranch_execz .LBB2_302
; %bb.381:                              ;   in Loop: Header=BB2_303 Depth=1
	s_mov_b64 s[10:11], 0
.LBB2_382:                              ;   Parent Loop BB2_303 Depth=1
                                        ; =>  This Inner Loop Header: Depth=2
	s_sleep 1
	global_store_dwordx2 v[2:3], v[10:11], off
	v_mov_b32_e32 v8, s0
	v_mov_b32_e32 v9, s1
	buffer_wbl2 sc0 sc1
	s_waitcnt vmcnt(0)
	global_atomic_cmpswap_x2 v[8:9], v29, v[8:11], s[2:3] offset:24 sc0 sc1
	s_waitcnt vmcnt(0)
	v_cmp_eq_u64_e32 vcc, v[8:9], v[10:11]
	s_or_b64 s[10:11], vcc, s[10:11]
	v_mov_b64_e32 v[10:11], v[8:9]
	s_andn2_b64 exec, exec, s[10:11]
	s_cbranch_execnz .LBB2_382
	s_branch .LBB2_302
.LBB2_383:                              ;   in Loop: Header=BB2_303 Depth=1
	s_branch .LBB2_356
.LBB2_384:                              ;   in Loop: Header=BB2_303 Depth=1
	v_mov_b64_e32 v[20:21], 0
	s_cbranch_execnz .LBB2_357
	s_branch .LBB2_356
.LBB2_385:
	s_branch .LBB2_413
.LBB2_386:
	s_cbranch_execz .LBB2_413
; %bb.387:
	v_readfirstlane_b32 s0, v32
	s_waitcnt vmcnt(0)
	v_mov_b64_e32 v[8:9], 0
	v_cmp_eq_u32_e64 s[0:1], s0, v32
	s_and_saveexec_b64 s[4:5], s[0:1]
	s_cbranch_execz .LBB2_393
; %bb.388:
	v_mov_b32_e32 v2, 0
	global_load_dwordx2 v[6:7], v2, s[2:3] offset:24 sc0 sc1
	s_waitcnt vmcnt(0)
	buffer_inv sc0 sc1
	global_load_dwordx2 v[4:5], v2, s[2:3] offset:40
	global_load_dwordx2 v[8:9], v2, s[2:3]
	s_waitcnt vmcnt(1)
	v_and_b32_e32 v3, v4, v6
	v_and_b32_e32 v4, v5, v7
	v_mul_lo_u32 v4, v4, 24
	v_mul_hi_u32 v5, v3, 24
	v_add_u32_e32 v5, v5, v4
	v_mul_lo_u32 v4, v3, 24
	s_waitcnt vmcnt(0)
	v_lshl_add_u64 v[4:5], v[8:9], 0, v[4:5]
	global_load_dwordx2 v[4:5], v[4:5], off sc0 sc1
	s_waitcnt vmcnt(0)
	global_atomic_cmpswap_x2 v[8:9], v2, v[4:7], s[2:3] offset:24 sc0 sc1
	s_waitcnt vmcnt(0)
	buffer_inv sc0 sc1
	v_cmp_ne_u64_e32 vcc, v[8:9], v[6:7]
	s_and_saveexec_b64 s[6:7], vcc
	s_cbranch_execz .LBB2_392
; %bb.389:
	s_mov_b64 s[8:9], 0
.LBB2_390:                              ; =>This Inner Loop Header: Depth=1
	s_sleep 1
	global_load_dwordx2 v[4:5], v2, s[2:3] offset:40
	global_load_dwordx2 v[10:11], v2, s[2:3]
	v_mov_b64_e32 v[6:7], v[8:9]
	s_waitcnt vmcnt(1)
	v_and_b32_e32 v4, v4, v6
	v_and_b32_e32 v3, v5, v7
	s_waitcnt vmcnt(0)
	v_mad_u64_u32 v[4:5], s[10:11], v4, 24, v[10:11]
	v_mov_b32_e32 v8, v5
	v_mad_u64_u32 v[8:9], s[10:11], v3, 24, v[8:9]
	v_mov_b32_e32 v5, v8
	global_load_dwordx2 v[4:5], v[4:5], off sc0 sc1
	s_waitcnt vmcnt(0)
	global_atomic_cmpswap_x2 v[8:9], v2, v[4:7], s[2:3] offset:24 sc0 sc1
	s_waitcnt vmcnt(0)
	buffer_inv sc0 sc1
	v_cmp_eq_u64_e32 vcc, v[8:9], v[6:7]
	s_or_b64 s[8:9], vcc, s[8:9]
	s_andn2_b64 exec, exec, s[8:9]
	s_cbranch_execnz .LBB2_390
; %bb.391:
	s_or_b64 exec, exec, s[8:9]
.LBB2_392:
	s_or_b64 exec, exec, s[6:7]
.LBB2_393:
	s_or_b64 exec, exec, s[4:5]
	v_mov_b32_e32 v2, 0
	global_load_dwordx2 v[10:11], v2, s[2:3] offset:40
	global_load_dwordx4 v[4:7], v2, s[2:3]
	v_readfirstlane_b32 s5, v9
	v_readfirstlane_b32 s4, v8
	s_mov_b64 s[6:7], exec
	s_waitcnt vmcnt(1)
	v_readfirstlane_b32 s8, v10
	v_readfirstlane_b32 s9, v11
	s_and_b64 s[8:9], s[8:9], s[4:5]
	s_mul_i32 s10, s9, 24
	s_mul_hi_u32 s11, s8, 24
	s_add_i32 s11, s11, s10
	s_mul_i32 s10, s8, 24
	s_waitcnt vmcnt(0)
	v_lshl_add_u64 v[8:9], v[4:5], 0, s[10:11]
	s_and_saveexec_b64 s[10:11], s[0:1]
	s_cbranch_execz .LBB2_395
; %bb.394:
	v_mov_b64_e32 v[10:11], s[6:7]
	v_mov_b32_e32 v12, 2
	v_mov_b32_e32 v13, 1
	global_store_dwordx4 v[8:9], v[10:13], off offset:8
.LBB2_395:
	s_or_b64 exec, exec, s[10:11]
	s_lshl_b64 s[6:7], s[8:9], 12
	v_lshl_add_u64 v[6:7], v[6:7], 0, s[6:7]
	s_movk_i32 s6, 0xff1d
	s_mov_b32 s8, 0
	v_and_or_b32 v0, v0, s6, 34
	v_mov_b32_e32 v3, v2
	v_readfirstlane_b32 s6, v6
	v_readfirstlane_b32 s7, v7
	s_mov_b32 s9, s8
	s_mov_b32 s10, s8
	;; [unrolled: 1-line block ×3, first 2 shown]
	s_nop 1
	global_store_dwordx4 v26, v[0:3], s[6:7]
	s_nop 1
	v_mov_b64_e32 v[0:1], s[8:9]
	v_mov_b64_e32 v[2:3], s[10:11]
	global_store_dwordx4 v26, v[0:3], s[6:7] offset:16
	global_store_dwordx4 v26, v[0:3], s[6:7] offset:32
	;; [unrolled: 1-line block ×3, first 2 shown]
	s_and_saveexec_b64 s[6:7], s[0:1]
	s_cbranch_execz .LBB2_403
; %bb.396:
	v_mov_b32_e32 v6, 0
	global_load_dwordx2 v[12:13], v6, s[2:3] offset:32 sc0 sc1
	global_load_dwordx2 v[0:1], v6, s[2:3] offset:40
	v_mov_b32_e32 v10, s4
	v_mov_b32_e32 v11, s5
	s_waitcnt vmcnt(0)
	v_readfirstlane_b32 s8, v0
	v_readfirstlane_b32 s9, v1
	s_and_b64 s[8:9], s[8:9], s[4:5]
	s_mul_i32 s9, s9, 24
	s_mul_hi_u32 s10, s8, 24
	s_mul_i32 s8, s8, 24
	s_add_i32 s9, s10, s9
	v_lshl_add_u64 v[4:5], v[4:5], 0, s[8:9]
	global_store_dwordx2 v[4:5], v[12:13], off
	buffer_wbl2 sc0 sc1
	s_waitcnt vmcnt(0)
	global_atomic_cmpswap_x2 v[2:3], v6, v[10:13], s[2:3] offset:32 sc0 sc1
	s_waitcnt vmcnt(0)
	v_cmp_ne_u64_e32 vcc, v[2:3], v[12:13]
	s_and_saveexec_b64 s[8:9], vcc
	s_cbranch_execz .LBB2_399
; %bb.397:
	s_mov_b64 s[10:11], 0
.LBB2_398:                              ; =>This Inner Loop Header: Depth=1
	s_sleep 1
	global_store_dwordx2 v[4:5], v[2:3], off
	v_mov_b32_e32 v0, s4
	v_mov_b32_e32 v1, s5
	buffer_wbl2 sc0 sc1
	s_waitcnt vmcnt(0)
	global_atomic_cmpswap_x2 v[0:1], v6, v[0:3], s[2:3] offset:32 sc0 sc1
	s_waitcnt vmcnt(0)
	v_cmp_eq_u64_e32 vcc, v[0:1], v[2:3]
	s_or_b64 s[10:11], vcc, s[10:11]
	v_mov_b64_e32 v[2:3], v[0:1]
	s_andn2_b64 exec, exec, s[10:11]
	s_cbranch_execnz .LBB2_398
.LBB2_399:
	s_or_b64 exec, exec, s[8:9]
	v_mov_b32_e32 v3, 0
	global_load_dwordx2 v[0:1], v3, s[2:3] offset:16
	s_mov_b64 s[8:9], exec
	v_mbcnt_lo_u32_b32 v2, s8, 0
	v_mbcnt_hi_u32_b32 v2, s9, v2
	v_cmp_eq_u32_e32 vcc, 0, v2
	s_and_saveexec_b64 s[10:11], vcc
	s_cbranch_execz .LBB2_401
; %bb.400:
	s_bcnt1_i32_b64 s8, s[8:9]
	v_mov_b32_e32 v2, s8
	buffer_wbl2 sc0 sc1
	s_waitcnt vmcnt(0)
	global_atomic_add_x2 v[0:1], v[2:3], off offset:8 sc1
.LBB2_401:
	s_or_b64 exec, exec, s[10:11]
	s_waitcnt vmcnt(0)
	global_load_dwordx2 v[2:3], v[0:1], off offset:16
	s_waitcnt vmcnt(0)
	v_cmp_eq_u64_e32 vcc, 0, v[2:3]
	s_cbranch_vccnz .LBB2_403
; %bb.402:
	global_load_dword v0, v[0:1], off offset:24
	v_mov_b32_e32 v1, 0
	s_waitcnt vmcnt(0)
	v_readfirstlane_b32 s8, v0
	s_and_b32 m0, s8, 0xffffff
	buffer_wbl2 sc0 sc1
	global_store_dwordx2 v[2:3], v[0:1], off sc0 sc1
	s_sendmsg sendmsg(MSG_INTERRUPT)
.LBB2_403:
	s_or_b64 exec, exec, s[6:7]
	s_branch .LBB2_405
.LBB2_404:
	s_branch .LBB2_409
.LBB2_405:                              ; =>This Inner Loop Header: Depth=1
	v_mov_b32_e32 v0, 1
	s_and_saveexec_b64 s[6:7], s[0:1]
	s_cbranch_execz .LBB2_407
; %bb.406:                              ;   in Loop: Header=BB2_405 Depth=1
	global_load_dword v0, v[8:9], off offset:20 sc0 sc1
	s_waitcnt vmcnt(0)
	buffer_inv sc0 sc1
	v_and_b32_e32 v0, 1, v0
.LBB2_407:                              ;   in Loop: Header=BB2_405 Depth=1
	s_or_b64 exec, exec, s[6:7]
	v_readfirstlane_b32 s6, v0
	s_cmp_eq_u32 s6, 0
	s_cbranch_scc1 .LBB2_404
; %bb.408:                              ;   in Loop: Header=BB2_405 Depth=1
	s_sleep 1
	s_cbranch_execnz .LBB2_405
.LBB2_409:
	s_and_saveexec_b64 s[6:7], s[0:1]
	s_cbranch_execz .LBB2_412
; %bb.410:
	v_mov_b32_e32 v6, 0
	global_load_dwordx2 v[0:1], v6, s[2:3] offset:40
	global_load_dwordx2 v[10:11], v6, s[2:3] offset:24 sc0 sc1
	global_load_dwordx2 v[2:3], v6, s[2:3]
	s_waitcnt vmcnt(2)
	v_readfirstlane_b32 s8, v0
	v_readfirstlane_b32 s9, v1
	s_add_u32 s10, s8, 1
	s_addc_u32 s11, s9, 0
	s_add_u32 s0, s10, s4
	s_addc_u32 s1, s11, s5
	s_cmp_eq_u64 s[0:1], 0
	s_cselect_b32 s1, s11, s1
	s_cselect_b32 s0, s10, s0
	s_and_b64 s[4:5], s[0:1], s[8:9]
	s_mul_i32 s5, s5, 24
	s_mul_hi_u32 s8, s4, 24
	s_mul_i32 s4, s4, 24
	s_add_i32 s5, s8, s5
	s_waitcnt vmcnt(0)
	v_lshl_add_u64 v[4:5], v[2:3], 0, s[4:5]
	v_mov_b32_e32 v8, s0
	global_store_dwordx2 v[4:5], v[10:11], off
	v_mov_b32_e32 v9, s1
	buffer_wbl2 sc0 sc1
	s_waitcnt vmcnt(0)
	global_atomic_cmpswap_x2 v[2:3], v6, v[8:11], s[2:3] offset:24 sc0 sc1
	s_mov_b64 s[4:5], 0
	s_waitcnt vmcnt(0)
	v_cmp_ne_u64_e32 vcc, v[2:3], v[10:11]
	s_and_b64 exec, exec, vcc
	s_cbranch_execz .LBB2_412
.LBB2_411:                              ; =>This Inner Loop Header: Depth=1
	s_sleep 1
	global_store_dwordx2 v[4:5], v[2:3], off
	v_mov_b32_e32 v0, s0
	v_mov_b32_e32 v1, s1
	buffer_wbl2 sc0 sc1
	s_waitcnt vmcnt(0)
	global_atomic_cmpswap_x2 v[0:1], v6, v[0:3], s[2:3] offset:24 sc0 sc1
	s_waitcnt vmcnt(0)
	v_cmp_eq_u64_e32 vcc, v[0:1], v[2:3]
	s_or_b64 s[4:5], vcc, s[4:5]
	v_mov_b64_e32 v[2:3], v[0:1]
	s_andn2_b64 exec, exec, s[4:5]
	s_cbranch_execnz .LBB2_411
.LBB2_412:
	s_or_b64 exec, exec, s[6:7]
.LBB2_413:
	s_getpc_b64 s[0:1]
	s_add_u32 s0, s0, .str.29@rel32@lo+4
	s_addc_u32 s1, s1, .str.29@rel32@hi+12
	s_getpc_b64 s[2:3]
	s_add_u32 s2, s2, .str.19@rel32@lo+4
	s_addc_u32 s3, s3, .str.19@rel32@hi+12
	s_getpc_b64 s[4:5]
	s_add_u32 s4, s4, __PRETTY_FUNCTION__._ZN7VecsMemIjLi8192EE5fetchEi@rel32@lo+4
	s_addc_u32 s5, s5, __PRETTY_FUNCTION__._ZN7VecsMemIjLi8192EE5fetchEi@rel32@hi+12
	s_getpc_b64 s[6:7]
	s_add_u32 s6, s6, __assert_fail@rel32@lo+4
	s_addc_u32 s7, s7, __assert_fail@rel32@hi+12
	s_mov_b64 s[8:9], s[34:35]
	s_waitcnt vmcnt(0)
	v_mov_b32_e32 v0, s0
	v_mov_b32_e32 v1, s1
	;; [unrolled: 1-line block ×7, first 2 shown]
	s_swappc_b64 s[30:31], s[6:7]
	s_or_b64 s[0:1], s[24:25], exec
.LBB2_414:
	s_or_b64 exec, exec, s[40:41]
	s_andn2_b64 s[2:3], s[22:23], exec
	s_and_b64 s[4:5], s[28:29], exec
	s_or_b64 s[22:23], s[2:3], s[4:5]
	s_andn2_b64 s[2:3], s[24:25], exec
	s_and_b64 s[0:1], s[0:1], exec
	v_mov_b32_e32 v64, -1
	s_or_b64 s[24:25], s[2:3], s[0:1]
	v_mov_b32_e32 v53, -1
.LBB2_415:
	s_or_b64 exec, exec, s[26:27]
	s_andn2_b64 s[4:5], s[36:37], exec
	s_and_b64 s[6:7], s[24:25], exec
	s_and_b64 s[0:1], s[22:23], exec
	s_xor_b64 s[2:3], exec, -1
	s_or_b64 s[4:5], s[4:5], s[6:7]
.LBB2_416:
	s_or_b64 exec, exec, s[48:49]
	s_and_b64 s[22:23], s[2:3], exec
	s_andn2_b64 s[2:3], s[36:37], exec
	s_and_b64 s[4:5], s[4:5], exec
	s_and_b64 s[0:1], s[0:1], exec
	s_or_b64 s[36:37], s[2:3], s[4:5]
	s_or_b64 exec, exec, s[38:39]
	s_and_saveexec_b64 s[2:3], s[36:37]
	s_xor_b64 s[2:3], exec, s[2:3]
	s_cbranch_execnz .LBB2_8
.LBB2_417:
	s_or_b64 exec, exec, s[2:3]
	s_and_saveexec_b64 s[2:3], s[22:23]
	s_cbranch_execz .LBB2_419
.LBB2_418:
	v_mov_b32_e32 v64, 0
	v_mov_b32_e32 v65, v64
	;; [unrolled: 1-line block ×4, first 2 shown]
	s_or_b64 s[0:1], s[0:1], exec
	v_mov_b32_e32 v53, v64
	flat_store_dwordx4 v[46:47], v[64:67]
.LBB2_419:
	s_or_b64 exec, exec, s[2:3]
	s_and_saveexec_b64 s[2:3], s[0:1]
; %bb.420:
	v_mov_b32_e32 v53, v64
; %bb.421:
	s_or_b64 exec, exec, s[2:3]
	scratch_load_dword v58, off, s33        ; 4-byte Folded Reload
	scratch_load_dword v57, off, s33 offset:4 ; 4-byte Folded Reload
	scratch_load_dword v56, off, s33 offset:8 ; 4-byte Folded Reload
	;; [unrolled: 1-line block ×10, first 2 shown]
	v_readlane_b32 s30, v59, 18
	v_mov_b32_e32 v0, v53
	v_readlane_b32 s31, v59, 19
	v_readlane_b32 s67, v59, 17
	;; [unrolled: 1-line block ×19, first 2 shown]
	s_mov_b32 s32, s33
	v_readlane_b32 s0, v59, 20
	s_or_saveexec_b64 s[2:3], -1
	scratch_load_dword v59, off, s33 offset:96 ; 4-byte Folded Reload
	s_mov_b64 exec, s[2:3]
	s_mov_b32 s33, s0
	s_waitcnt vmcnt(0) lgkmcnt(0)
	s_setpc_b64 s[30:31]
.Lfunc_end2:
	.size	_ZN3sop14minatoIsop5RecEjjiPNS_3SopEP7VecsMemIjLi8192EE, .Lfunc_end2-_ZN3sop14minatoIsop5RecEjjiPNS_3SopEP7VecsMemIjLi8192EE
                                        ; -- End function
	.set .L_ZN3sop14minatoIsop5RecEjjiPNS_3SopEP7VecsMemIjLi8192EE.num_vgpr, max(70, .L__assert_fail.num_vgpr)
	.set .L_ZN3sop14minatoIsop5RecEjjiPNS_3SopEP7VecsMemIjLi8192EE.num_agpr, max(0, .L__assert_fail.num_agpr)
	.set .L_ZN3sop14minatoIsop5RecEjjiPNS_3SopEP7VecsMemIjLi8192EE.numbered_sgpr, max(68, .L__assert_fail.numbered_sgpr)
	.set .L_ZN3sop14minatoIsop5RecEjjiPNS_3SopEP7VecsMemIjLi8192EE.num_named_barrier, max(0, .L__assert_fail.num_named_barrier)
	.set .L_ZN3sop14minatoIsop5RecEjjiPNS_3SopEP7VecsMemIjLi8192EE.private_seg_size, 112+max(.L__assert_fail.private_seg_size)
	.set .L_ZN3sop14minatoIsop5RecEjjiPNS_3SopEP7VecsMemIjLi8192EE.uses_vcc, or(1, .L__assert_fail.uses_vcc)
	.set .L_ZN3sop14minatoIsop5RecEjjiPNS_3SopEP7VecsMemIjLi8192EE.uses_flat_scratch, or(0, .L__assert_fail.uses_flat_scratch)
	.set .L_ZN3sop14minatoIsop5RecEjjiPNS_3SopEP7VecsMemIjLi8192EE.has_dyn_sized_stack, or(0, .L__assert_fail.has_dyn_sized_stack)
	.set .L_ZN3sop14minatoIsop5RecEjjiPNS_3SopEP7VecsMemIjLi8192EE.has_recursion, or(1, .L__assert_fail.has_recursion)
	.set .L_ZN3sop14minatoIsop5RecEjjiPNS_3SopEP7VecsMemIjLi8192EE.has_indirect_call, or(0, .L__assert_fail.has_indirect_call)
	.section	.AMDGPU.csdata,"",@progbits
; Function info:
; codeLenInByte = 13588
; TotalNumSgprs: 74
; NumVgprs: 70
; NumAgprs: 0
; TotalNumVgprs: 70
; ScratchSize: 176
; MemoryBound: 0
	.text
	.p2align	2                               ; -- Begin function _ZN3sop13minatoIsopRecEPKjS1_iPNS_3SopEP7VecsMemIjLi8192EE
	.type	_ZN3sop13minatoIsopRecEPKjS1_iPNS_3SopEP7VecsMemIjLi8192EE,@function
_ZN3sop13minatoIsopRecEPKjS1_iPNS_3SopEP7VecsMemIjLi8192EE: ; @_ZN3sop13minatoIsopRecEPKjS1_iPNS_3SopEP7VecsMemIjLi8192EE
; %bb.0:
	s_waitcnt vmcnt(0) expcnt(0) lgkmcnt(0)
	s_mov_b32 s0, s33
	s_mov_b32 s33, s32
	s_or_saveexec_b64 s[2:3], -1
	scratch_store_dword off, v88, s33 offset:144 ; 4-byte Folded Spill
	scratch_store_dword off, v89, s33 offset:148 ; 4-byte Folded Spill
	s_mov_b64 exec, s[2:3]
	v_writelane_b32 v88, s0, 36
	s_addk_i32 s32, 0xa0
	scratch_store_dword off, v40, s33 offset:92 ; 4-byte Folded Spill
	scratch_store_dword off, v41, s33 offset:88 ; 4-byte Folded Spill
	;; [unrolled: 1-line block ×23, first 2 shown]
	scratch_store_dword off, v79, s33       ; 4-byte Folded Spill
	v_writelane_b32 v88, s34, 0
	v_writelane_b32 v88, s35, 1
	v_writelane_b32 v88, s36, 2
	v_writelane_b32 v88, s37, 3
	v_writelane_b32 v88, s38, 4
	v_writelane_b32 v88, s39, 5
	v_writelane_b32 v88, s48, 6
	v_writelane_b32 v88, s49, 7
	v_writelane_b32 v88, s50, 8
	v_writelane_b32 v88, s51, 9
	v_writelane_b32 v88, s52, 10
	v_writelane_b32 v88, s53, 11
	v_writelane_b32 v88, s54, 12
	v_writelane_b32 v88, s55, 13
	v_writelane_b32 v88, s64, 14
	v_writelane_b32 v88, s65, 15
	v_writelane_b32 v88, s66, 16
	v_writelane_b32 v88, s67, 17
	v_writelane_b32 v88, s68, 18
	v_writelane_b32 v88, s69, 19
	v_writelane_b32 v88, s70, 20
	v_writelane_b32 v88, s71, 21
	v_writelane_b32 v88, s80, 22
	v_writelane_b32 v88, s81, 23
	v_writelane_b32 v88, s82, 24
	v_writelane_b32 v88, s83, 25
	v_writelane_b32 v88, s84, 26
	v_writelane_b32 v88, s85, 27
	v_writelane_b32 v88, s86, 28
	v_writelane_b32 v88, s87, 29
	v_writelane_b32 v88, s96, 30
	v_writelane_b32 v88, s97, 31
	v_writelane_b32 v88, s98, 32
	v_writelane_b32 v88, s99, 33
	v_writelane_b32 v88, s30, 34
	s_nop 1
	v_writelane_b32 v88, s31, 35
	v_mov_b32_e32 v46, v0
	v_add_u32_e32 v0, -5, v4
	v_lshlrev_b32_e64 v0, v0, 1
	v_cmp_lt_i32_e32 vcc, 5, v4
	v_mov_b32_e32 v73, v8
	v_mov_b32_e32 v72, v7
	v_cndmask_b32_e32 v62, 1, v0, vcc
	v_mov_b32_e32 v75, v6
	v_mov_b32_e32 v74, v5
	;; [unrolled: 1-line block ×5, first 2 shown]
	v_cmp_lt_i32_e32 vcc, 0, v62
	s_mov_b64 s[0:1], -1
	s_mov_b64 s[68:69], 0
	v_mov_b64_e32 v[42:43], 0
	s_and_saveexec_b64 s[24:25], vcc
	s_cbranch_execnz .LBB3_5
; %bb.1:
	s_or_b64 exec, exec, s[24:25]
	s_and_saveexec_b64 s[70:71], s[0:1]
	s_cbranch_execnz .LBB3_148
.LBB3_2:
	s_or_b64 exec, exec, s[70:71]
	s_and_saveexec_b64 s[0:1], s[68:69]
.LBB3_3:
	; divergent unreachable
.LBB3_4:
	s_or_b64 exec, exec, s[0:1]
	v_mov_b32_e32 v0, v42
	v_mov_b32_e32 v1, v43
	scratch_load_dword v79, off, s33        ; 4-byte Folded Reload
	scratch_load_dword v78, off, s33 offset:4 ; 4-byte Folded Reload
	scratch_load_dword v77, off, s33 offset:8 ; 4-byte Folded Reload
	;; [unrolled: 1-line block ×23, first 2 shown]
	v_readlane_b32 s30, v88, 34
	v_readlane_b32 s31, v88, 35
	;; [unrolled: 1-line block ×36, first 2 shown]
	s_mov_b32 s32, s33
	v_readlane_b32 s0, v88, 36
	s_or_saveexec_b64 s[2:3], -1
	scratch_load_dword v88, off, s33 offset:144 ; 4-byte Folded Reload
	scratch_load_dword v89, off, s33 offset:148 ; 4-byte Folded Reload
	s_mov_b64 exec, s[2:3]
	s_mov_b32 s33, s0
	s_waitcnt vmcnt(0) lgkmcnt(0)
	s_setpc_b64 s[30:31]
.LBB3_5:
	flat_load_dword v0, v[72:73]
	s_movk_i32 s2, 0x2001
	s_mov_b64 s[0:1], 0
	v_mov_b64_e32 v[42:43], 0
	s_mov_b64 s[26:27], 0
	s_waitcnt vmcnt(0) lgkmcnt(0)
	v_add_u32_e32 v0, v0, v62
	v_cmp_gt_i32_e32 vcc, s2, v0
	s_and_saveexec_b64 s[2:3], vcc
	s_xor_b64 s[2:3], exec, s[2:3]
	s_cbranch_execz .LBB3_7
; %bb.6:
	v_ashrrev_i32_e32 v1, 31, v0
	v_mov_b32_e32 v63, 0
	flat_store_dword v[72:73], v0
	v_lshl_add_u64 v[0:1], v[0:1], 2, v[72:73]
	v_lshlrev_b64 v[2:3], 2, v[62:63]
	v_sub_co_u32_e32 v0, vcc, v0, v2
	s_mov_b64 s[26:27], exec
	s_nop 0
	v_subb_co_u32_e32 v1, vcc, v1, v3, vcc
	v_lshl_add_u64 v[42:43], v[0:1], 0, 4
.LBB3_7:
	s_andn2_saveexec_b64 s[28:29], s[2:3]
	s_cbranch_execz .LBB3_147
; %bb.8:
	s_load_dwordx2 s[2:3], s[8:9], 0x50
	v_mbcnt_lo_u32_b32 v0, -1, 0
	v_mbcnt_hi_u32_b32 v5, -1, v0
	v_mov_b64_e32 v[6:7], 0
	v_readfirstlane_b32 s0, v5
	s_nop 1
	v_cmp_eq_u32_e64 s[0:1], s0, v5
	s_and_saveexec_b64 s[4:5], s[0:1]
	s_cbranch_execz .LBB3_14
; %bb.9:
	v_mov_b32_e32 v0, 0
	s_waitcnt lgkmcnt(0)
	global_load_dwordx2 v[8:9], v0, s[2:3] offset:24 sc0 sc1
	s_waitcnt vmcnt(0)
	buffer_inv sc0 sc1
	global_load_dwordx2 v[2:3], v0, s[2:3] offset:40
	global_load_dwordx2 v[6:7], v0, s[2:3]
	s_waitcnt vmcnt(1)
	v_and_b32_e32 v1, v2, v8
	v_and_b32_e32 v2, v3, v9
	v_mul_lo_u32 v2, v2, 24
	v_mul_hi_u32 v3, v1, 24
	v_add_u32_e32 v3, v3, v2
	v_mul_lo_u32 v2, v1, 24
	s_waitcnt vmcnt(0)
	v_lshl_add_u64 v[2:3], v[6:7], 0, v[2:3]
	global_load_dwordx2 v[6:7], v[2:3], off sc0 sc1
	s_waitcnt vmcnt(0)
	global_atomic_cmpswap_x2 v[6:7], v0, v[6:9], s[2:3] offset:24 sc0 sc1
	s_waitcnt vmcnt(0)
	buffer_inv sc0 sc1
	v_cmp_ne_u64_e32 vcc, v[6:7], v[8:9]
	s_and_saveexec_b64 s[6:7], vcc
	s_cbranch_execz .LBB3_13
; %bb.10:
	s_mov_b64 s[10:11], 0
.LBB3_11:                               ; =>This Inner Loop Header: Depth=1
	s_sleep 1
	global_load_dwordx2 v[2:3], v0, s[2:3] offset:40
	global_load_dwordx2 v[10:11], v0, s[2:3]
	v_mov_b64_e32 v[8:9], v[6:7]
	s_waitcnt vmcnt(1)
	v_and_b32_e32 v2, v2, v8
	v_and_b32_e32 v1, v3, v9
	s_waitcnt vmcnt(0)
	v_mad_u64_u32 v[2:3], s[12:13], v2, 24, v[10:11]
	v_mov_b32_e32 v6, v3
	v_mad_u64_u32 v[6:7], s[12:13], v1, 24, v[6:7]
	v_mov_b32_e32 v3, v6
	global_load_dwordx2 v[6:7], v[2:3], off sc0 sc1
	s_waitcnt vmcnt(0)
	global_atomic_cmpswap_x2 v[6:7], v0, v[6:9], s[2:3] offset:24 sc0 sc1
	s_waitcnt vmcnt(0)
	buffer_inv sc0 sc1
	v_cmp_eq_u64_e32 vcc, v[6:7], v[8:9]
	s_or_b64 s[10:11], vcc, s[10:11]
	s_andn2_b64 exec, exec, s[10:11]
	s_cbranch_execnz .LBB3_11
; %bb.12:
	s_or_b64 exec, exec, s[10:11]
.LBB3_13:
	s_or_b64 exec, exec, s[6:7]
.LBB3_14:
	s_or_b64 exec, exec, s[4:5]
	v_mov_b32_e32 v31, 0
	s_waitcnt lgkmcnt(0)
	global_load_dwordx2 v[8:9], v31, s[2:3] offset:40
	global_load_dwordx4 v[0:3], v31, s[2:3]
	v_readfirstlane_b32 s5, v7
	v_readfirstlane_b32 s4, v6
	s_mov_b64 s[6:7], exec
	s_waitcnt vmcnt(0)
	v_readfirstlane_b32 s10, v8
	v_readfirstlane_b32 s11, v9
	s_and_b64 s[10:11], s[10:11], s[4:5]
	s_mul_i32 s12, s11, 24
	s_mul_hi_u32 s13, s10, 24
	s_add_i32 s13, s13, s12
	s_mul_i32 s12, s10, 24
	v_lshl_add_u64 v[6:7], v[0:1], 0, s[12:13]
	s_and_saveexec_b64 s[12:13], s[0:1]
	s_cbranch_execz .LBB3_16
; %bb.15:
	v_mov_b64_e32 v[8:9], s[6:7]
	v_mov_b32_e32 v10, 2
	v_mov_b32_e32 v11, 1
	global_store_dwordx4 v[6:7], v[8:11], off offset:8
.LBB3_16:
	s_or_b64 exec, exec, s[12:13]
	s_lshl_b64 s[6:7], s[10:11], 12
	v_lshl_add_u64 v[8:9], v[2:3], 0, s[6:7]
	s_mov_b32 s12, 0
	v_lshlrev_b32_e32 v30, 6, v5
	v_mov_b32_e32 v10, 33
	v_mov_b32_e32 v11, v31
	;; [unrolled: 1-line block ×4, first 2 shown]
	v_readfirstlane_b32 s6, v8
	v_readfirstlane_b32 s7, v9
	s_mov_b32 s13, s12
	s_mov_b32 s14, s12
	;; [unrolled: 1-line block ×3, first 2 shown]
	s_nop 1
	global_store_dwordx4 v30, v[10:13], s[6:7]
	s_nop 1
	v_mov_b64_e32 v[10:11], s[12:13]
	v_mov_b64_e32 v[12:13], s[14:15]
	global_store_dwordx4 v30, v[10:13], s[6:7] offset:16
	global_store_dwordx4 v30, v[10:13], s[6:7] offset:32
	;; [unrolled: 1-line block ×3, first 2 shown]
	s_and_saveexec_b64 s[6:7], s[0:1]
	s_cbranch_execz .LBB3_24
; %bb.17:
	v_mov_b32_e32 v12, 0
	global_load_dwordx2 v[16:17], v12, s[2:3] offset:32 sc0 sc1
	global_load_dwordx2 v[2:3], v12, s[2:3] offset:40
	v_mov_b32_e32 v14, s4
	v_mov_b32_e32 v15, s5
	s_waitcnt vmcnt(0)
	v_and_b32_e32 v2, s4, v2
	v_and_b32_e32 v3, s5, v3
	v_mul_lo_u32 v3, v3, 24
	v_mul_hi_u32 v10, v2, 24
	v_mul_lo_u32 v2, v2, 24
	v_add_u32_e32 v3, v10, v3
	v_lshl_add_u64 v[10:11], v[0:1], 0, v[2:3]
	global_store_dwordx2 v[10:11], v[16:17], off
	buffer_wbl2 sc0 sc1
	s_waitcnt vmcnt(0)
	global_atomic_cmpswap_x2 v[2:3], v12, v[14:17], s[2:3] offset:32 sc0 sc1
	s_waitcnt vmcnt(0)
	v_cmp_ne_u64_e32 vcc, v[2:3], v[16:17]
	s_and_saveexec_b64 s[10:11], vcc
	s_cbranch_execz .LBB3_20
; %bb.18:
	s_mov_b64 s[12:13], 0
.LBB3_19:                               ; =>This Inner Loop Header: Depth=1
	s_sleep 1
	global_store_dwordx2 v[10:11], v[2:3], off
	v_mov_b32_e32 v0, s4
	v_mov_b32_e32 v1, s5
	buffer_wbl2 sc0 sc1
	s_waitcnt vmcnt(0)
	global_atomic_cmpswap_x2 v[0:1], v12, v[0:3], s[2:3] offset:32 sc0 sc1
	s_waitcnt vmcnt(0)
	v_cmp_eq_u64_e32 vcc, v[0:1], v[2:3]
	s_or_b64 s[12:13], vcc, s[12:13]
	v_mov_b64_e32 v[2:3], v[0:1]
	s_andn2_b64 exec, exec, s[12:13]
	s_cbranch_execnz .LBB3_19
.LBB3_20:
	s_or_b64 exec, exec, s[10:11]
	v_mov_b32_e32 v3, 0
	global_load_dwordx2 v[0:1], v3, s[2:3] offset:16
	s_mov_b64 s[10:11], exec
	v_mbcnt_lo_u32_b32 v2, s10, 0
	v_mbcnt_hi_u32_b32 v2, s11, v2
	v_cmp_eq_u32_e32 vcc, 0, v2
	s_and_saveexec_b64 s[12:13], vcc
	s_cbranch_execz .LBB3_22
; %bb.21:
	s_bcnt1_i32_b64 s10, s[10:11]
	v_mov_b32_e32 v2, s10
	buffer_wbl2 sc0 sc1
	s_waitcnt vmcnt(0)
	global_atomic_add_x2 v[0:1], v[2:3], off offset:8 sc1
.LBB3_22:
	s_or_b64 exec, exec, s[12:13]
	s_waitcnt vmcnt(0)
	global_load_dwordx2 v[2:3], v[0:1], off offset:16
	s_waitcnt vmcnt(0)
	v_cmp_eq_u64_e32 vcc, 0, v[2:3]
	s_cbranch_vccnz .LBB3_24
; %bb.23:
	global_load_dword v0, v[0:1], off offset:24
	v_mov_b32_e32 v1, 0
	s_waitcnt vmcnt(0)
	v_readfirstlane_b32 s10, v0
	s_and_b32 m0, s10, 0xffffff
	buffer_wbl2 sc0 sc1
	global_store_dwordx2 v[2:3], v[0:1], off sc0 sc1
	s_sendmsg sendmsg(MSG_INTERRUPT)
.LBB3_24:
	s_or_b64 exec, exec, s[6:7]
	v_lshl_add_u64 v[0:1], v[8:9], 0, v[30:31]
	s_branch .LBB3_28
.LBB3_25:                               ;   in Loop: Header=BB3_28 Depth=1
	s_or_b64 exec, exec, s[6:7]
	v_readfirstlane_b32 s6, v2
	s_cmp_eq_u32 s6, 0
	s_cbranch_scc1 .LBB3_27
; %bb.26:                               ;   in Loop: Header=BB3_28 Depth=1
	s_sleep 1
	s_cbranch_execnz .LBB3_28
	s_branch .LBB3_30
.LBB3_27:
	s_branch .LBB3_30
.LBB3_28:                               ; =>This Inner Loop Header: Depth=1
	v_mov_b32_e32 v2, 1
	s_and_saveexec_b64 s[6:7], s[0:1]
	s_cbranch_execz .LBB3_25
; %bb.29:                               ;   in Loop: Header=BB3_28 Depth=1
	global_load_dword v2, v[6:7], off offset:20 sc0 sc1
	s_waitcnt vmcnt(0)
	buffer_inv sc0 sc1
	v_and_b32_e32 v2, 1, v2
	s_branch .LBB3_25
.LBB3_30:
	global_load_dwordx2 v[0:1], v[0:1], off
	s_and_saveexec_b64 s[6:7], s[0:1]
	s_cbranch_execz .LBB3_33
; %bb.31:
	v_mov_b32_e32 v10, 0
	global_load_dwordx2 v[2:3], v10, s[2:3] offset:40
	global_load_dwordx2 v[14:15], v10, s[2:3] offset:24 sc0 sc1
	global_load_dwordx2 v[6:7], v10, s[2:3]
	s_waitcnt vmcnt(2)
	v_readfirstlane_b32 s10, v2
	v_readfirstlane_b32 s11, v3
	s_add_u32 s12, s10, 1
	s_addc_u32 s13, s11, 0
	s_add_u32 s0, s12, s4
	s_addc_u32 s1, s13, s5
	s_cmp_eq_u64 s[0:1], 0
	s_cselect_b32 s1, s13, s1
	s_cselect_b32 s0, s12, s0
	s_and_b64 s[4:5], s[0:1], s[10:11]
	s_mul_i32 s5, s5, 24
	s_mul_hi_u32 s10, s4, 24
	s_mul_i32 s4, s4, 24
	s_add_i32 s5, s10, s5
	s_waitcnt vmcnt(0)
	v_lshl_add_u64 v[2:3], v[6:7], 0, s[4:5]
	v_mov_b32_e32 v12, s0
	global_store_dwordx2 v[2:3], v[14:15], off
	v_mov_b32_e32 v13, s1
	buffer_wbl2 sc0 sc1
	s_waitcnt vmcnt(0)
	global_atomic_cmpswap_x2 v[8:9], v10, v[12:15], s[2:3] offset:24 sc0 sc1
	s_mov_b64 s[4:5], 0
	s_waitcnt vmcnt(0)
	v_cmp_ne_u64_e32 vcc, v[8:9], v[14:15]
	s_and_b64 exec, exec, vcc
	s_cbranch_execz .LBB3_33
.LBB3_32:                               ; =>This Inner Loop Header: Depth=1
	s_sleep 1
	global_store_dwordx2 v[2:3], v[8:9], off
	v_mov_b32_e32 v6, s0
	v_mov_b32_e32 v7, s1
	buffer_wbl2 sc0 sc1
	s_waitcnt vmcnt(0)
	global_atomic_cmpswap_x2 v[6:7], v10, v[6:9], s[2:3] offset:24 sc0 sc1
	s_waitcnt vmcnt(0)
	v_cmp_eq_u64_e32 vcc, v[6:7], v[8:9]
	s_or_b64 s[4:5], vcc, s[4:5]
	v_mov_b64_e32 v[8:9], v[6:7]
	s_andn2_b64 exec, exec, s[4:5]
	s_cbranch_execnz .LBB3_32
.LBB3_33:
	s_or_b64 exec, exec, s[6:7]
	s_getpc_b64 s[4:5]
	s_add_u32 s4, s4, .str.28@rel32@lo+4
	s_addc_u32 s5, s5, .str.28@rel32@hi+12
	s_cmp_lg_u64 s[4:5], 0
	s_cbranch_scc0 .LBB3_119
; %bb.34:
	s_waitcnt vmcnt(0)
	v_and_b32_e32 v10, -3, v0
	v_mov_b32_e32 v11, v1
	s_mov_b64 s[6:7], 35
	v_mov_b32_e32 v3, 0
	v_mov_b32_e32 v8, 2
	;; [unrolled: 1-line block ×3, first 2 shown]
	s_branch .LBB3_36
.LBB3_35:                               ;   in Loop: Header=BB3_36 Depth=1
	s_or_b64 exec, exec, s[14:15]
	s_sub_u32 s6, s6, s10
	s_subb_u32 s7, s7, s11
	s_add_u32 s4, s4, s10
	s_addc_u32 s5, s5, s11
	s_cmp_lg_u64 s[6:7], 0
	s_cbranch_scc0 .LBB3_118
.LBB3_36:                               ; =>This Loop Header: Depth=1
                                        ;     Child Loop BB3_39 Depth 2
                                        ;     Child Loop BB3_47 Depth 2
	;; [unrolled: 1-line block ×11, first 2 shown]
	v_cmp_lt_u64_e64 s[0:1], s[6:7], 56
	s_and_b64 s[0:1], s[0:1], exec
	s_cselect_b32 s11, s7, 0
	s_cselect_b32 s10, s6, 56
	v_cmp_gt_u64_e64 s[12:13], s[6:7], 7
	s_add_u32 s0, s4, 8
	s_addc_u32 s1, s5, 0
	s_and_b64 vcc, exec, s[12:13]
	s_cbranch_vccnz .LBB3_40
; %bb.37:                               ;   in Loop: Header=BB3_36 Depth=1
	s_cmp_eq_u64 s[6:7], 0
	s_cbranch_scc1 .LBB3_41
; %bb.38:                               ;   in Loop: Header=BB3_36 Depth=1
	s_lshl_b64 s[0:1], s[10:11], 3
	s_mov_b64 s[12:13], 0
	s_waitcnt vmcnt(0)
	v_mov_b64_e32 v[12:13], 0
	s_mov_b64 s[14:15], s[4:5]
.LBB3_39:                               ;   Parent Loop BB3_36 Depth=1
                                        ; =>  This Inner Loop Header: Depth=2
	global_load_ubyte v2, v3, s[14:15]
	s_waitcnt vmcnt(0)
	v_and_b32_e32 v2, 0xffff, v2
	v_lshlrev_b64 v[6:7], s12, v[2:3]
	s_add_u32 s12, s12, 8
	s_addc_u32 s13, s13, 0
	s_add_u32 s14, s14, 1
	s_addc_u32 s15, s15, 0
	v_or_b32_e32 v12, v6, v12
	s_cmp_lg_u32 s0, s12
	v_or_b32_e32 v13, v7, v13
	s_cbranch_scc1 .LBB3_39
	s_branch .LBB3_42
.LBB3_40:                               ;   in Loop: Header=BB3_36 Depth=1
	s_mov_b32 s16, 0
	s_branch .LBB3_43
.LBB3_41:                               ;   in Loop: Header=BB3_36 Depth=1
	s_waitcnt vmcnt(0)
	v_mov_b64_e32 v[12:13], 0
.LBB3_42:                               ;   in Loop: Header=BB3_36 Depth=1
	s_mov_b64 s[0:1], s[4:5]
	s_mov_b32 s16, 0
	s_cbranch_execnz .LBB3_44
.LBB3_43:                               ;   in Loop: Header=BB3_36 Depth=1
	global_load_dwordx2 v[12:13], v3, s[4:5]
	s_add_i32 s16, s10, -8
.LBB3_44:                               ;   in Loop: Header=BB3_36 Depth=1
	s_add_u32 s12, s0, 8
	s_addc_u32 s13, s1, 0
	s_cmp_gt_u32 s16, 7
	s_cbranch_scc1 .LBB3_48
; %bb.45:                               ;   in Loop: Header=BB3_36 Depth=1
	s_cmp_eq_u32 s16, 0
	s_cbranch_scc1 .LBB3_49
; %bb.46:                               ;   in Loop: Header=BB3_36 Depth=1
	s_mov_b64 s[12:13], 0
	v_mov_b64_e32 v[14:15], 0
	s_mov_b64 s[14:15], 0
.LBB3_47:                               ;   Parent Loop BB3_36 Depth=1
                                        ; =>  This Inner Loop Header: Depth=2
	s_add_u32 s18, s0, s14
	s_addc_u32 s19, s1, s15
	global_load_ubyte v2, v3, s[18:19]
	s_add_u32 s14, s14, 1
	s_addc_u32 s15, s15, 0
	s_waitcnt vmcnt(0)
	v_and_b32_e32 v2, 0xffff, v2
	v_lshlrev_b64 v[6:7], s12, v[2:3]
	s_add_u32 s12, s12, 8
	s_addc_u32 s13, s13, 0
	v_or_b32_e32 v14, v6, v14
	s_cmp_lg_u32 s16, s14
	v_or_b32_e32 v15, v7, v15
	s_cbranch_scc1 .LBB3_47
	s_branch .LBB3_50
.LBB3_48:                               ;   in Loop: Header=BB3_36 Depth=1
                                        ; implicit-def: $vgpr14_vgpr15
	s_mov_b32 s17, 0
	s_branch .LBB3_51
.LBB3_49:                               ;   in Loop: Header=BB3_36 Depth=1
	v_mov_b64_e32 v[14:15], 0
.LBB3_50:                               ;   in Loop: Header=BB3_36 Depth=1
	s_mov_b64 s[12:13], s[0:1]
	s_mov_b32 s17, 0
	s_cbranch_execnz .LBB3_52
.LBB3_51:                               ;   in Loop: Header=BB3_36 Depth=1
	global_load_dwordx2 v[14:15], v3, s[0:1]
	s_add_i32 s17, s16, -8
.LBB3_52:                               ;   in Loop: Header=BB3_36 Depth=1
	s_add_u32 s0, s12, 8
	s_addc_u32 s1, s13, 0
	s_cmp_gt_u32 s17, 7
	s_cbranch_scc1 .LBB3_56
; %bb.53:                               ;   in Loop: Header=BB3_36 Depth=1
	s_cmp_eq_u32 s17, 0
	s_cbranch_scc1 .LBB3_57
; %bb.54:                               ;   in Loop: Header=BB3_36 Depth=1
	s_mov_b64 s[0:1], 0
	v_mov_b64_e32 v[16:17], 0
	s_mov_b64 s[14:15], 0
.LBB3_55:                               ;   Parent Loop BB3_36 Depth=1
                                        ; =>  This Inner Loop Header: Depth=2
	s_add_u32 s18, s12, s14
	s_addc_u32 s19, s13, s15
	global_load_ubyte v2, v3, s[18:19]
	s_add_u32 s14, s14, 1
	s_addc_u32 s15, s15, 0
	s_waitcnt vmcnt(0)
	v_and_b32_e32 v2, 0xffff, v2
	v_lshlrev_b64 v[6:7], s0, v[2:3]
	s_add_u32 s0, s0, 8
	s_addc_u32 s1, s1, 0
	v_or_b32_e32 v16, v6, v16
	s_cmp_lg_u32 s17, s14
	v_or_b32_e32 v17, v7, v17
	s_cbranch_scc1 .LBB3_55
	s_branch .LBB3_58
.LBB3_56:                               ;   in Loop: Header=BB3_36 Depth=1
	s_mov_b32 s16, 0
	s_branch .LBB3_59
.LBB3_57:                               ;   in Loop: Header=BB3_36 Depth=1
	v_mov_b64_e32 v[16:17], 0
.LBB3_58:                               ;   in Loop: Header=BB3_36 Depth=1
	s_mov_b64 s[0:1], s[12:13]
	s_mov_b32 s16, 0
	s_cbranch_execnz .LBB3_60
.LBB3_59:                               ;   in Loop: Header=BB3_36 Depth=1
	global_load_dwordx2 v[16:17], v3, s[12:13]
	s_add_i32 s16, s17, -8
.LBB3_60:                               ;   in Loop: Header=BB3_36 Depth=1
	s_add_u32 s12, s0, 8
	s_addc_u32 s13, s1, 0
	s_cmp_gt_u32 s16, 7
	s_cbranch_scc1 .LBB3_64
; %bb.61:                               ;   in Loop: Header=BB3_36 Depth=1
	s_cmp_eq_u32 s16, 0
	s_cbranch_scc1 .LBB3_65
; %bb.62:                               ;   in Loop: Header=BB3_36 Depth=1
	s_mov_b64 s[12:13], 0
	v_mov_b64_e32 v[18:19], 0
	s_mov_b64 s[14:15], 0
.LBB3_63:                               ;   Parent Loop BB3_36 Depth=1
                                        ; =>  This Inner Loop Header: Depth=2
	s_add_u32 s18, s0, s14
	s_addc_u32 s19, s1, s15
	global_load_ubyte v2, v3, s[18:19]
	s_add_u32 s14, s14, 1
	s_addc_u32 s15, s15, 0
	s_waitcnt vmcnt(0)
	v_and_b32_e32 v2, 0xffff, v2
	v_lshlrev_b64 v[6:7], s12, v[2:3]
	s_add_u32 s12, s12, 8
	s_addc_u32 s13, s13, 0
	v_or_b32_e32 v18, v6, v18
	s_cmp_lg_u32 s16, s14
	v_or_b32_e32 v19, v7, v19
	s_cbranch_scc1 .LBB3_63
	s_branch .LBB3_66
.LBB3_64:                               ;   in Loop: Header=BB3_36 Depth=1
                                        ; implicit-def: $vgpr18_vgpr19
	s_mov_b32 s17, 0
	s_branch .LBB3_67
.LBB3_65:                               ;   in Loop: Header=BB3_36 Depth=1
	v_mov_b64_e32 v[18:19], 0
.LBB3_66:                               ;   in Loop: Header=BB3_36 Depth=1
	s_mov_b64 s[12:13], s[0:1]
	s_mov_b32 s17, 0
	s_cbranch_execnz .LBB3_68
.LBB3_67:                               ;   in Loop: Header=BB3_36 Depth=1
	global_load_dwordx2 v[18:19], v3, s[0:1]
	s_add_i32 s17, s16, -8
.LBB3_68:                               ;   in Loop: Header=BB3_36 Depth=1
	s_add_u32 s0, s12, 8
	s_addc_u32 s1, s13, 0
	s_cmp_gt_u32 s17, 7
	s_cbranch_scc1 .LBB3_72
; %bb.69:                               ;   in Loop: Header=BB3_36 Depth=1
	s_cmp_eq_u32 s17, 0
	s_cbranch_scc1 .LBB3_73
; %bb.70:                               ;   in Loop: Header=BB3_36 Depth=1
	s_mov_b64 s[0:1], 0
	v_mov_b64_e32 v[20:21], 0
	s_mov_b64 s[14:15], 0
.LBB3_71:                               ;   Parent Loop BB3_36 Depth=1
                                        ; =>  This Inner Loop Header: Depth=2
	s_add_u32 s18, s12, s14
	s_addc_u32 s19, s13, s15
	global_load_ubyte v2, v3, s[18:19]
	s_add_u32 s14, s14, 1
	s_addc_u32 s15, s15, 0
	s_waitcnt vmcnt(0)
	v_and_b32_e32 v2, 0xffff, v2
	v_lshlrev_b64 v[6:7], s0, v[2:3]
	s_add_u32 s0, s0, 8
	s_addc_u32 s1, s1, 0
	v_or_b32_e32 v20, v6, v20
	s_cmp_lg_u32 s17, s14
	v_or_b32_e32 v21, v7, v21
	s_cbranch_scc1 .LBB3_71
	s_branch .LBB3_74
.LBB3_72:                               ;   in Loop: Header=BB3_36 Depth=1
	s_mov_b32 s16, 0
	s_branch .LBB3_75
.LBB3_73:                               ;   in Loop: Header=BB3_36 Depth=1
	v_mov_b64_e32 v[20:21], 0
.LBB3_74:                               ;   in Loop: Header=BB3_36 Depth=1
	s_mov_b64 s[0:1], s[12:13]
	s_mov_b32 s16, 0
	s_cbranch_execnz .LBB3_76
.LBB3_75:                               ;   in Loop: Header=BB3_36 Depth=1
	global_load_dwordx2 v[20:21], v3, s[12:13]
	s_add_i32 s16, s17, -8
.LBB3_76:                               ;   in Loop: Header=BB3_36 Depth=1
	s_add_u32 s12, s0, 8
	s_addc_u32 s13, s1, 0
	s_cmp_gt_u32 s16, 7
	s_cbranch_scc1 .LBB3_80
; %bb.77:                               ;   in Loop: Header=BB3_36 Depth=1
	s_cmp_eq_u32 s16, 0
	s_cbranch_scc1 .LBB3_81
; %bb.78:                               ;   in Loop: Header=BB3_36 Depth=1
	s_mov_b64 s[12:13], 0
	v_mov_b64_e32 v[22:23], 0
	s_mov_b64 s[14:15], 0
.LBB3_79:                               ;   Parent Loop BB3_36 Depth=1
                                        ; =>  This Inner Loop Header: Depth=2
	s_add_u32 s18, s0, s14
	s_addc_u32 s19, s1, s15
	global_load_ubyte v2, v3, s[18:19]
	s_add_u32 s14, s14, 1
	s_addc_u32 s15, s15, 0
	s_waitcnt vmcnt(0)
	v_and_b32_e32 v2, 0xffff, v2
	v_lshlrev_b64 v[6:7], s12, v[2:3]
	s_add_u32 s12, s12, 8
	s_addc_u32 s13, s13, 0
	v_or_b32_e32 v22, v6, v22
	s_cmp_lg_u32 s16, s14
	v_or_b32_e32 v23, v7, v23
	s_cbranch_scc1 .LBB3_79
	s_branch .LBB3_82
.LBB3_80:                               ;   in Loop: Header=BB3_36 Depth=1
                                        ; implicit-def: $vgpr22_vgpr23
	s_mov_b32 s17, 0
	s_branch .LBB3_83
.LBB3_81:                               ;   in Loop: Header=BB3_36 Depth=1
	v_mov_b64_e32 v[22:23], 0
.LBB3_82:                               ;   in Loop: Header=BB3_36 Depth=1
	s_mov_b64 s[12:13], s[0:1]
	s_mov_b32 s17, 0
	s_cbranch_execnz .LBB3_84
.LBB3_83:                               ;   in Loop: Header=BB3_36 Depth=1
	global_load_dwordx2 v[22:23], v3, s[0:1]
	s_add_i32 s17, s16, -8
.LBB3_84:                               ;   in Loop: Header=BB3_36 Depth=1
	s_cmp_gt_u32 s17, 7
	s_cbranch_scc1 .LBB3_88
; %bb.85:                               ;   in Loop: Header=BB3_36 Depth=1
	s_cmp_eq_u32 s17, 0
	s_cbranch_scc1 .LBB3_89
; %bb.86:                               ;   in Loop: Header=BB3_36 Depth=1
	s_mov_b64 s[0:1], 0
	v_mov_b64_e32 v[24:25], 0
	s_mov_b64 s[14:15], s[12:13]
.LBB3_87:                               ;   Parent Loop BB3_36 Depth=1
                                        ; =>  This Inner Loop Header: Depth=2
	global_load_ubyte v2, v3, s[14:15]
	s_add_i32 s17, s17, -1
	s_waitcnt vmcnt(0)
	v_and_b32_e32 v2, 0xffff, v2
	v_lshlrev_b64 v[6:7], s0, v[2:3]
	s_add_u32 s0, s0, 8
	s_addc_u32 s1, s1, 0
	s_add_u32 s14, s14, 1
	s_addc_u32 s15, s15, 0
	v_or_b32_e32 v24, v6, v24
	s_cmp_lg_u32 s17, 0
	v_or_b32_e32 v25, v7, v25
	s_cbranch_scc1 .LBB3_87
	s_branch .LBB3_90
.LBB3_88:                               ;   in Loop: Header=BB3_36 Depth=1
	s_branch .LBB3_91
.LBB3_89:                               ;   in Loop: Header=BB3_36 Depth=1
	v_mov_b64_e32 v[24:25], 0
.LBB3_90:                               ;   in Loop: Header=BB3_36 Depth=1
	s_cbranch_execnz .LBB3_92
.LBB3_91:                               ;   in Loop: Header=BB3_36 Depth=1
	global_load_dwordx2 v[24:25], v3, s[12:13]
.LBB3_92:                               ;   in Loop: Header=BB3_36 Depth=1
	v_readfirstlane_b32 s0, v5
	v_mov_b64_e32 v[6:7], 0
	s_nop 0
	v_cmp_eq_u32_e64 s[0:1], s0, v5
	s_and_saveexec_b64 s[12:13], s[0:1]
	s_cbranch_execz .LBB3_98
; %bb.93:                               ;   in Loop: Header=BB3_36 Depth=1
	global_load_dwordx2 v[28:29], v3, s[2:3] offset:24 sc0 sc1
	s_waitcnt vmcnt(0)
	buffer_inv sc0 sc1
	global_load_dwordx2 v[6:7], v3, s[2:3] offset:40
	global_load_dwordx2 v[26:27], v3, s[2:3]
	s_waitcnt vmcnt(1)
	v_and_b32_e32 v2, v6, v28
	v_and_b32_e32 v6, v7, v29
	v_mul_lo_u32 v6, v6, 24
	v_mul_hi_u32 v7, v2, 24
	v_add_u32_e32 v7, v7, v6
	v_mul_lo_u32 v6, v2, 24
	s_waitcnt vmcnt(0)
	v_lshl_add_u64 v[6:7], v[26:27], 0, v[6:7]
	global_load_dwordx2 v[26:27], v[6:7], off sc0 sc1
	s_waitcnt vmcnt(0)
	global_atomic_cmpswap_x2 v[6:7], v3, v[26:29], s[2:3] offset:24 sc0 sc1
	s_waitcnt vmcnt(0)
	buffer_inv sc0 sc1
	v_cmp_ne_u64_e32 vcc, v[6:7], v[28:29]
	s_and_saveexec_b64 s[14:15], vcc
	s_cbranch_execz .LBB3_97
; %bb.94:                               ;   in Loop: Header=BB3_36 Depth=1
	s_mov_b64 s[16:17], 0
.LBB3_95:                               ;   Parent Loop BB3_36 Depth=1
                                        ; =>  This Inner Loop Header: Depth=2
	s_sleep 1
	global_load_dwordx2 v[26:27], v3, s[2:3] offset:40
	global_load_dwordx2 v[32:33], v3, s[2:3]
	v_mov_b64_e32 v[28:29], v[6:7]
	s_waitcnt vmcnt(1)
	v_and_b32_e32 v2, v26, v28
	s_waitcnt vmcnt(0)
	v_mad_u64_u32 v[6:7], s[18:19], v2, 24, v[32:33]
	v_and_b32_e32 v27, v27, v29
	v_mov_b32_e32 v2, v7
	v_mad_u64_u32 v[26:27], s[18:19], v27, 24, v[2:3]
	v_mov_b32_e32 v7, v26
	global_load_dwordx2 v[26:27], v[6:7], off sc0 sc1
	s_waitcnt vmcnt(0)
	global_atomic_cmpswap_x2 v[6:7], v3, v[26:29], s[2:3] offset:24 sc0 sc1
	s_waitcnt vmcnt(0)
	buffer_inv sc0 sc1
	v_cmp_eq_u64_e32 vcc, v[6:7], v[28:29]
	s_or_b64 s[16:17], vcc, s[16:17]
	s_andn2_b64 exec, exec, s[16:17]
	s_cbranch_execnz .LBB3_95
; %bb.96:                               ;   in Loop: Header=BB3_36 Depth=1
	s_or_b64 exec, exec, s[16:17]
.LBB3_97:                               ;   in Loop: Header=BB3_36 Depth=1
	s_or_b64 exec, exec, s[14:15]
.LBB3_98:                               ;   in Loop: Header=BB3_36 Depth=1
	s_or_b64 exec, exec, s[12:13]
	global_load_dwordx2 v[32:33], v3, s[2:3] offset:40
	global_load_dwordx4 v[26:29], v3, s[2:3]
	v_readfirstlane_b32 s13, v7
	v_readfirstlane_b32 s12, v6
	s_mov_b64 s[14:15], exec
	s_waitcnt vmcnt(1)
	v_readfirstlane_b32 s16, v32
	v_readfirstlane_b32 s17, v33
	s_and_b64 s[16:17], s[16:17], s[12:13]
	s_mul_i32 s18, s17, 24
	s_mul_hi_u32 s19, s16, 24
	s_add_i32 s19, s19, s18
	s_mul_i32 s18, s16, 24
	s_waitcnt vmcnt(0)
	v_lshl_add_u64 v[32:33], v[26:27], 0, s[18:19]
	s_and_saveexec_b64 s[18:19], s[0:1]
	s_cbranch_execz .LBB3_100
; %bb.99:                               ;   in Loop: Header=BB3_36 Depth=1
	v_mov_b64_e32 v[6:7], s[14:15]
	global_store_dwordx4 v[32:33], v[6:9], off offset:8
.LBB3_100:                              ;   in Loop: Header=BB3_36 Depth=1
	s_or_b64 exec, exec, s[18:19]
	s_lshl_b64 s[14:15], s[16:17], 12
	v_lshl_add_u64 v[6:7], v[28:29], 0, s[14:15]
	v_cmp_gt_u64_e64 s[14:15], s[6:7], 56
	s_and_b64 s[14:15], s[14:15], exec
	s_cselect_b32 s14, 0, 2
	s_lshl_b32 s15, s10, 2
	s_add_i32 s15, s15, 28
	v_and_b32_e32 v2, 0xffffff1f, v10
	s_and_b32 s15, s15, 0x1e0
	v_or_b32_e32 v2, s14, v2
	v_or_b32_e32 v10, s15, v2
	v_readfirstlane_b32 s14, v6
	v_readfirstlane_b32 s15, v7
	s_nop 4
	global_store_dwordx4 v30, v[10:13], s[14:15]
	global_store_dwordx4 v30, v[14:17], s[14:15] offset:16
	global_store_dwordx4 v30, v[18:21], s[14:15] offset:32
	;; [unrolled: 1-line block ×3, first 2 shown]
	s_and_saveexec_b64 s[14:15], s[0:1]
	s_cbranch_execz .LBB3_108
; %bb.101:                              ;   in Loop: Header=BB3_36 Depth=1
	global_load_dwordx2 v[18:19], v3, s[2:3] offset:32 sc0 sc1
	global_load_dwordx2 v[10:11], v3, s[2:3] offset:40
	v_mov_b32_e32 v16, s12
	v_mov_b32_e32 v17, s13
	s_waitcnt vmcnt(0)
	v_readfirstlane_b32 s16, v10
	v_readfirstlane_b32 s17, v11
	s_and_b64 s[16:17], s[16:17], s[12:13]
	s_mul_i32 s17, s17, 24
	s_mul_hi_u32 s18, s16, 24
	s_mul_i32 s16, s16, 24
	s_add_i32 s17, s18, s17
	v_lshl_add_u64 v[14:15], v[26:27], 0, s[16:17]
	global_store_dwordx2 v[14:15], v[18:19], off
	buffer_wbl2 sc0 sc1
	s_waitcnt vmcnt(0)
	global_atomic_cmpswap_x2 v[12:13], v3, v[16:19], s[2:3] offset:32 sc0 sc1
	s_waitcnt vmcnt(0)
	v_cmp_ne_u64_e32 vcc, v[12:13], v[18:19]
	s_and_saveexec_b64 s[16:17], vcc
	s_cbranch_execz .LBB3_104
; %bb.102:                              ;   in Loop: Header=BB3_36 Depth=1
	s_mov_b64 s[18:19], 0
.LBB3_103:                              ;   Parent Loop BB3_36 Depth=1
                                        ; =>  This Inner Loop Header: Depth=2
	s_sleep 1
	global_store_dwordx2 v[14:15], v[12:13], off
	v_mov_b32_e32 v10, s12
	v_mov_b32_e32 v11, s13
	buffer_wbl2 sc0 sc1
	s_waitcnt vmcnt(0)
	global_atomic_cmpswap_x2 v[10:11], v3, v[10:13], s[2:3] offset:32 sc0 sc1
	s_waitcnt vmcnt(0)
	v_cmp_eq_u64_e32 vcc, v[10:11], v[12:13]
	s_or_b64 s[18:19], vcc, s[18:19]
	v_mov_b64_e32 v[12:13], v[10:11]
	s_andn2_b64 exec, exec, s[18:19]
	s_cbranch_execnz .LBB3_103
.LBB3_104:                              ;   in Loop: Header=BB3_36 Depth=1
	s_or_b64 exec, exec, s[16:17]
	global_load_dwordx2 v[10:11], v3, s[2:3] offset:16
	s_mov_b64 s[18:19], exec
	v_mbcnt_lo_u32_b32 v2, s18, 0
	v_mbcnt_hi_u32_b32 v2, s19, v2
	v_cmp_eq_u32_e32 vcc, 0, v2
	s_and_saveexec_b64 s[16:17], vcc
	s_cbranch_execz .LBB3_106
; %bb.105:                              ;   in Loop: Header=BB3_36 Depth=1
	s_bcnt1_i32_b64 s18, s[18:19]
	v_mov_b32_e32 v2, s18
	buffer_wbl2 sc0 sc1
	s_waitcnt vmcnt(0)
	global_atomic_add_x2 v[10:11], v[2:3], off offset:8 sc1
.LBB3_106:                              ;   in Loop: Header=BB3_36 Depth=1
	s_or_b64 exec, exec, s[16:17]
	s_waitcnt vmcnt(0)
	global_load_dwordx2 v[12:13], v[10:11], off offset:16
	s_waitcnt vmcnt(0)
	v_cmp_eq_u64_e32 vcc, 0, v[12:13]
	s_cbranch_vccnz .LBB3_108
; %bb.107:                              ;   in Loop: Header=BB3_36 Depth=1
	global_load_dword v2, v[10:11], off offset:24
	s_waitcnt vmcnt(0)
	v_readfirstlane_b32 s16, v2
	s_and_b32 m0, s16, 0xffffff
	buffer_wbl2 sc0 sc1
	global_store_dwordx2 v[12:13], v[2:3], off sc0 sc1
	s_sendmsg sendmsg(MSG_INTERRUPT)
.LBB3_108:                              ;   in Loop: Header=BB3_36 Depth=1
	s_or_b64 exec, exec, s[14:15]
	v_mov_b32_e32 v31, v3
	v_lshl_add_u64 v[6:7], v[6:7], 0, v[30:31]
	s_branch .LBB3_112
.LBB3_109:                              ;   in Loop: Header=BB3_112 Depth=2
	s_or_b64 exec, exec, s[14:15]
	v_readfirstlane_b32 s14, v2
	s_cmp_eq_u32 s14, 0
	s_cbranch_scc1 .LBB3_111
; %bb.110:                              ;   in Loop: Header=BB3_112 Depth=2
	s_sleep 1
	s_cbranch_execnz .LBB3_112
	s_branch .LBB3_114
.LBB3_111:                              ;   in Loop: Header=BB3_36 Depth=1
	s_branch .LBB3_114
.LBB3_112:                              ;   Parent Loop BB3_36 Depth=1
                                        ; =>  This Inner Loop Header: Depth=2
	v_mov_b32_e32 v2, 1
	s_and_saveexec_b64 s[14:15], s[0:1]
	s_cbranch_execz .LBB3_109
; %bb.113:                              ;   in Loop: Header=BB3_112 Depth=2
	global_load_dword v2, v[32:33], off offset:20 sc0 sc1
	s_waitcnt vmcnt(0)
	buffer_inv sc0 sc1
	v_and_b32_e32 v2, 1, v2
	s_branch .LBB3_109
.LBB3_114:                              ;   in Loop: Header=BB3_36 Depth=1
	global_load_dwordx4 v[10:13], v[6:7], off
	s_and_saveexec_b64 s[14:15], s[0:1]
	s_cbranch_execz .LBB3_35
; %bb.115:                              ;   in Loop: Header=BB3_36 Depth=1
	global_load_dwordx2 v[6:7], v3, s[2:3] offset:40
	global_load_dwordx2 v[16:17], v3, s[2:3] offset:24 sc0 sc1
	global_load_dwordx2 v[12:13], v3, s[2:3]
	s_waitcnt vmcnt(2)
	v_readfirstlane_b32 s16, v6
	v_readfirstlane_b32 s17, v7
	s_add_u32 s18, s16, 1
	s_addc_u32 s19, s17, 0
	s_add_u32 s0, s18, s12
	s_addc_u32 s1, s19, s13
	s_cmp_eq_u64 s[0:1], 0
	s_cselect_b32 s1, s19, s1
	s_cselect_b32 s0, s18, s0
	s_and_b64 s[12:13], s[0:1], s[16:17]
	s_mul_i32 s13, s13, 24
	s_mul_hi_u32 s16, s12, 24
	s_mul_i32 s12, s12, 24
	s_add_i32 s13, s16, s13
	s_waitcnt vmcnt(0)
	v_lshl_add_u64 v[6:7], v[12:13], 0, s[12:13]
	v_mov_b32_e32 v14, s0
	global_store_dwordx2 v[6:7], v[16:17], off
	v_mov_b32_e32 v15, s1
	buffer_wbl2 sc0 sc1
	s_waitcnt vmcnt(0)
	global_atomic_cmpswap_x2 v[14:15], v3, v[14:17], s[2:3] offset:24 sc0 sc1
	s_waitcnt vmcnt(0)
	v_cmp_ne_u64_e32 vcc, v[14:15], v[16:17]
	s_and_b64 exec, exec, vcc
	s_cbranch_execz .LBB3_35
; %bb.116:                              ;   in Loop: Header=BB3_36 Depth=1
	s_mov_b64 s[12:13], 0
.LBB3_117:                              ;   Parent Loop BB3_36 Depth=1
                                        ; =>  This Inner Loop Header: Depth=2
	s_sleep 1
	global_store_dwordx2 v[6:7], v[14:15], off
	v_mov_b32_e32 v12, s0
	v_mov_b32_e32 v13, s1
	buffer_wbl2 sc0 sc1
	s_waitcnt vmcnt(0)
	global_atomic_cmpswap_x2 v[12:13], v3, v[12:15], s[2:3] offset:24 sc0 sc1
	s_waitcnt vmcnt(0)
	v_cmp_eq_u64_e32 vcc, v[12:13], v[14:15]
	s_or_b64 s[12:13], vcc, s[12:13]
	v_mov_b64_e32 v[14:15], v[12:13]
	s_andn2_b64 exec, exec, s[12:13]
	s_cbranch_execnz .LBB3_117
	s_branch .LBB3_35
.LBB3_118:
	v_mov_b32_e32 v53, v4
	s_branch .LBB3_146
.LBB3_119:
	v_mov_b32_e32 v53, v4
	s_cbranch_execz .LBB3_146
; %bb.120:
	v_readfirstlane_b32 s0, v5
	v_mov_b64_e32 v[8:9], 0
	s_nop 0
	v_cmp_eq_u32_e64 s[0:1], s0, v5
	s_and_saveexec_b64 s[4:5], s[0:1]
	s_cbranch_execz .LBB3_126
; %bb.121:
	v_mov_b32_e32 v2, 0
	global_load_dwordx2 v[6:7], v2, s[2:3] offset:24 sc0 sc1
	s_waitcnt vmcnt(0)
	buffer_inv sc0 sc1
	global_load_dwordx2 v[4:5], v2, s[2:3] offset:40
	global_load_dwordx2 v[8:9], v2, s[2:3]
	s_waitcnt vmcnt(1)
	v_and_b32_e32 v3, v4, v6
	v_and_b32_e32 v4, v5, v7
	v_mul_lo_u32 v4, v4, 24
	v_mul_hi_u32 v5, v3, 24
	v_add_u32_e32 v5, v5, v4
	v_mul_lo_u32 v4, v3, 24
	s_waitcnt vmcnt(0)
	v_lshl_add_u64 v[4:5], v[8:9], 0, v[4:5]
	global_load_dwordx2 v[4:5], v[4:5], off sc0 sc1
	s_waitcnt vmcnt(0)
	global_atomic_cmpswap_x2 v[8:9], v2, v[4:7], s[2:3] offset:24 sc0 sc1
	s_waitcnt vmcnt(0)
	buffer_inv sc0 sc1
	v_cmp_ne_u64_e32 vcc, v[8:9], v[6:7]
	s_and_saveexec_b64 s[6:7], vcc
	s_cbranch_execz .LBB3_125
; %bb.122:
	s_mov_b64 s[10:11], 0
.LBB3_123:                              ; =>This Inner Loop Header: Depth=1
	s_sleep 1
	global_load_dwordx2 v[4:5], v2, s[2:3] offset:40
	global_load_dwordx2 v[10:11], v2, s[2:3]
	v_mov_b64_e32 v[6:7], v[8:9]
	s_waitcnt vmcnt(1)
	v_and_b32_e32 v4, v4, v6
	v_and_b32_e32 v3, v5, v7
	s_waitcnt vmcnt(0)
	v_mad_u64_u32 v[4:5], s[12:13], v4, 24, v[10:11]
	v_mov_b32_e32 v8, v5
	v_mad_u64_u32 v[8:9], s[12:13], v3, 24, v[8:9]
	v_mov_b32_e32 v5, v8
	global_load_dwordx2 v[4:5], v[4:5], off sc0 sc1
	s_waitcnt vmcnt(0)
	global_atomic_cmpswap_x2 v[8:9], v2, v[4:7], s[2:3] offset:24 sc0 sc1
	s_waitcnt vmcnt(0)
	buffer_inv sc0 sc1
	v_cmp_eq_u64_e32 vcc, v[8:9], v[6:7]
	s_or_b64 s[10:11], vcc, s[10:11]
	s_andn2_b64 exec, exec, s[10:11]
	s_cbranch_execnz .LBB3_123
; %bb.124:
	s_or_b64 exec, exec, s[10:11]
.LBB3_125:
	s_or_b64 exec, exec, s[6:7]
.LBB3_126:
	s_or_b64 exec, exec, s[4:5]
	v_mov_b32_e32 v2, 0
	global_load_dwordx2 v[10:11], v2, s[2:3] offset:40
	global_load_dwordx4 v[4:7], v2, s[2:3]
	v_readfirstlane_b32 s5, v9
	v_readfirstlane_b32 s4, v8
	s_mov_b64 s[6:7], exec
	s_waitcnt vmcnt(1)
	v_readfirstlane_b32 s10, v10
	v_readfirstlane_b32 s11, v11
	s_and_b64 s[10:11], s[10:11], s[4:5]
	s_mul_i32 s12, s11, 24
	s_mul_hi_u32 s13, s10, 24
	s_add_i32 s13, s13, s12
	s_mul_i32 s12, s10, 24
	s_waitcnt vmcnt(0)
	v_lshl_add_u64 v[8:9], v[4:5], 0, s[12:13]
	s_and_saveexec_b64 s[12:13], s[0:1]
	s_cbranch_execz .LBB3_128
; %bb.127:
	v_mov_b64_e32 v[10:11], s[6:7]
	v_mov_b32_e32 v12, 2
	v_mov_b32_e32 v13, 1
	global_store_dwordx4 v[8:9], v[10:13], off offset:8
.LBB3_128:
	s_or_b64 exec, exec, s[12:13]
	s_lshl_b64 s[6:7], s[10:11], 12
	v_lshl_add_u64 v[6:7], v[6:7], 0, s[6:7]
	s_movk_i32 s6, 0xff1d
	s_mov_b32 s12, 0
	v_and_or_b32 v0, v0, s6, 34
	v_mov_b32_e32 v3, v2
	v_readfirstlane_b32 s6, v6
	v_readfirstlane_b32 s7, v7
	s_mov_b32 s13, s12
	s_mov_b32 s14, s12
	;; [unrolled: 1-line block ×3, first 2 shown]
	s_nop 1
	global_store_dwordx4 v30, v[0:3], s[6:7]
	s_nop 1
	v_mov_b64_e32 v[0:1], s[12:13]
	v_mov_b64_e32 v[2:3], s[14:15]
	global_store_dwordx4 v30, v[0:3], s[6:7] offset:16
	global_store_dwordx4 v30, v[0:3], s[6:7] offset:32
	;; [unrolled: 1-line block ×3, first 2 shown]
	s_and_saveexec_b64 s[6:7], s[0:1]
	s_cbranch_execz .LBB3_136
; %bb.129:
	v_mov_b32_e32 v6, 0
	global_load_dwordx2 v[12:13], v6, s[2:3] offset:32 sc0 sc1
	global_load_dwordx2 v[0:1], v6, s[2:3] offset:40
	v_mov_b32_e32 v10, s4
	v_mov_b32_e32 v11, s5
	s_waitcnt vmcnt(0)
	v_readfirstlane_b32 s10, v0
	v_readfirstlane_b32 s11, v1
	s_and_b64 s[10:11], s[10:11], s[4:5]
	s_mul_i32 s11, s11, 24
	s_mul_hi_u32 s12, s10, 24
	s_mul_i32 s10, s10, 24
	s_add_i32 s11, s12, s11
	v_lshl_add_u64 v[4:5], v[4:5], 0, s[10:11]
	global_store_dwordx2 v[4:5], v[12:13], off
	buffer_wbl2 sc0 sc1
	s_waitcnt vmcnt(0)
	global_atomic_cmpswap_x2 v[2:3], v6, v[10:13], s[2:3] offset:32 sc0 sc1
	s_waitcnt vmcnt(0)
	v_cmp_ne_u64_e32 vcc, v[2:3], v[12:13]
	s_and_saveexec_b64 s[10:11], vcc
	s_cbranch_execz .LBB3_132
; %bb.130:
	s_mov_b64 s[12:13], 0
.LBB3_131:                              ; =>This Inner Loop Header: Depth=1
	s_sleep 1
	global_store_dwordx2 v[4:5], v[2:3], off
	v_mov_b32_e32 v0, s4
	v_mov_b32_e32 v1, s5
	buffer_wbl2 sc0 sc1
	s_waitcnt vmcnt(0)
	global_atomic_cmpswap_x2 v[0:1], v6, v[0:3], s[2:3] offset:32 sc0 sc1
	s_waitcnt vmcnt(0)
	v_cmp_eq_u64_e32 vcc, v[0:1], v[2:3]
	s_or_b64 s[12:13], vcc, s[12:13]
	v_mov_b64_e32 v[2:3], v[0:1]
	s_andn2_b64 exec, exec, s[12:13]
	s_cbranch_execnz .LBB3_131
.LBB3_132:
	s_or_b64 exec, exec, s[10:11]
	v_mov_b32_e32 v3, 0
	global_load_dwordx2 v[0:1], v3, s[2:3] offset:16
	s_mov_b64 s[10:11], exec
	v_mbcnt_lo_u32_b32 v2, s10, 0
	v_mbcnt_hi_u32_b32 v2, s11, v2
	v_cmp_eq_u32_e32 vcc, 0, v2
	s_and_saveexec_b64 s[12:13], vcc
	s_cbranch_execz .LBB3_134
; %bb.133:
	s_bcnt1_i32_b64 s10, s[10:11]
	v_mov_b32_e32 v2, s10
	buffer_wbl2 sc0 sc1
	s_waitcnt vmcnt(0)
	global_atomic_add_x2 v[0:1], v[2:3], off offset:8 sc1
.LBB3_134:
	s_or_b64 exec, exec, s[12:13]
	s_waitcnt vmcnt(0)
	global_load_dwordx2 v[2:3], v[0:1], off offset:16
	s_waitcnt vmcnt(0)
	v_cmp_eq_u64_e32 vcc, 0, v[2:3]
	s_cbranch_vccnz .LBB3_136
; %bb.135:
	global_load_dword v0, v[0:1], off offset:24
	v_mov_b32_e32 v1, 0
	s_waitcnt vmcnt(0)
	v_readfirstlane_b32 s10, v0
	s_and_b32 m0, s10, 0xffffff
	buffer_wbl2 sc0 sc1
	global_store_dwordx2 v[2:3], v[0:1], off sc0 sc1
	s_sendmsg sendmsg(MSG_INTERRUPT)
.LBB3_136:
	s_or_b64 exec, exec, s[6:7]
	s_branch .LBB3_140
.LBB3_137:                              ;   in Loop: Header=BB3_140 Depth=1
	s_or_b64 exec, exec, s[6:7]
	v_readfirstlane_b32 s6, v0
	s_cmp_eq_u32 s6, 0
	s_cbranch_scc1 .LBB3_139
; %bb.138:                              ;   in Loop: Header=BB3_140 Depth=1
	s_sleep 1
	s_cbranch_execnz .LBB3_140
	s_branch .LBB3_142
.LBB3_139:
	s_branch .LBB3_142
.LBB3_140:                              ; =>This Inner Loop Header: Depth=1
	v_mov_b32_e32 v0, 1
	s_and_saveexec_b64 s[6:7], s[0:1]
	s_cbranch_execz .LBB3_137
; %bb.141:                              ;   in Loop: Header=BB3_140 Depth=1
	global_load_dword v0, v[8:9], off offset:20 sc0 sc1
	s_waitcnt vmcnt(0)
	buffer_inv sc0 sc1
	v_and_b32_e32 v0, 1, v0
	s_branch .LBB3_137
.LBB3_142:
	s_and_saveexec_b64 s[6:7], s[0:1]
	s_cbranch_execz .LBB3_145
; %bb.143:
	v_mov_b32_e32 v6, 0
	global_load_dwordx2 v[0:1], v6, s[2:3] offset:40
	global_load_dwordx2 v[10:11], v6, s[2:3] offset:24 sc0 sc1
	global_load_dwordx2 v[2:3], v6, s[2:3]
	s_waitcnt vmcnt(2)
	v_readfirstlane_b32 s10, v0
	v_readfirstlane_b32 s11, v1
	s_add_u32 s12, s10, 1
	s_addc_u32 s13, s11, 0
	s_add_u32 s0, s12, s4
	s_addc_u32 s1, s13, s5
	s_cmp_eq_u64 s[0:1], 0
	s_cselect_b32 s1, s13, s1
	s_cselect_b32 s0, s12, s0
	s_and_b64 s[4:5], s[0:1], s[10:11]
	s_mul_i32 s5, s5, 24
	s_mul_hi_u32 s10, s4, 24
	s_mul_i32 s4, s4, 24
	s_add_i32 s5, s10, s5
	s_waitcnt vmcnt(0)
	v_lshl_add_u64 v[4:5], v[2:3], 0, s[4:5]
	v_mov_b32_e32 v8, s0
	global_store_dwordx2 v[4:5], v[10:11], off
	v_mov_b32_e32 v9, s1
	buffer_wbl2 sc0 sc1
	s_waitcnt vmcnt(0)
	global_atomic_cmpswap_x2 v[2:3], v6, v[8:11], s[2:3] offset:24 sc0 sc1
	s_mov_b64 s[4:5], 0
	s_waitcnt vmcnt(0)
	v_cmp_ne_u64_e32 vcc, v[2:3], v[10:11]
	s_and_b64 exec, exec, vcc
	s_cbranch_execz .LBB3_145
.LBB3_144:                              ; =>This Inner Loop Header: Depth=1
	s_sleep 1
	global_store_dwordx2 v[4:5], v[2:3], off
	v_mov_b32_e32 v0, s0
	v_mov_b32_e32 v1, s1
	buffer_wbl2 sc0 sc1
	s_waitcnt vmcnt(0)
	global_atomic_cmpswap_x2 v[0:1], v6, v[0:3], s[2:3] offset:24 sc0 sc1
	s_waitcnt vmcnt(0)
	v_cmp_eq_u64_e32 vcc, v[0:1], v[2:3]
	s_or_b64 s[4:5], vcc, s[4:5]
	v_mov_b64_e32 v[2:3], v[0:1]
	s_andn2_b64 exec, exec, s[4:5]
	s_cbranch_execnz .LBB3_144
.LBB3_145:
	s_or_b64 exec, exec, s[6:7]
.LBB3_146:
	s_getpc_b64 s[0:1]
	s_add_u32 s0, s0, .str.29@rel32@lo+4
	s_addc_u32 s1, s1, .str.29@rel32@hi+12
	s_getpc_b64 s[2:3]
	s_add_u32 s2, s2, .str.19@rel32@lo+4
	s_addc_u32 s3, s3, .str.19@rel32@hi+12
	s_getpc_b64 s[4:5]
	s_add_u32 s4, s4, __PRETTY_FUNCTION__._ZN7VecsMemIjLi8192EE5fetchEi@rel32@lo+4
	s_addc_u32 s5, s5, __PRETTY_FUNCTION__._ZN7VecsMemIjLi8192EE5fetchEi@rel32@hi+12
	s_getpc_b64 s[6:7]
	s_add_u32 s6, s6, __assert_fail@rel32@lo+4
	s_addc_u32 s7, s7, __assert_fail@rel32@hi+12
	s_waitcnt vmcnt(0)
	v_mov_b32_e32 v0, s0
	v_mov_b32_e32 v1, s1
	;; [unrolled: 1-line block ×7, first 2 shown]
	s_mov_b64 s[22:23], s[8:9]
	s_swappc_b64 s[30:31], s[6:7]
	s_mov_b64 s[8:9], s[22:23]
	s_mov_b64 s[0:1], exec
	v_mov_b32_e32 v4, v53
.LBB3_147:
	s_or_b64 exec, exec, s[28:29]
	s_and_b64 s[68:69], s[0:1], exec
	s_orn2_b64 s[0:1], s[26:27], exec
	s_or_b64 exec, exec, s[24:25]
	s_and_saveexec_b64 s[70:71], s[0:1]
	s_cbranch_execz .LBB3_2
.LBB3_148:
	s_mov_b64 s[0:1], 0
	v_cmp_ne_u64_e32 vcc, 0, v[42:43]
	s_mov_b64 s[22:23], s[68:69]
	s_and_saveexec_b64 s[2:3], vcc
	s_xor_b64 s[50:51], exec, s[2:3]
	s_cbranch_execz .LBB3_674
; %bb.149:
	v_mov_b32_e32 v1, 0
	v_mov_b32_e32 v0, v62
                                        ; implicit-def: $sgpr4_sgpr5
                                        ; implicit-def: $sgpr6_sgpr7
                                        ; implicit-def: $sgpr2_sgpr3
	s_branch .LBB3_151
.LBB3_150:                              ;   in Loop: Header=BB3_151 Depth=1
	s_or_b64 exec, exec, s[10:11]
	s_xor_b64 s[10:11], s[2:3], -1
	s_and_b64 s[12:13], exec, s[6:7]
	s_or_b64 s[0:1], s[12:13], s[0:1]
	s_andn2_b64 s[4:5], s[4:5], exec
	s_and_b64 s[10:11], s[10:11], exec
	s_or_b64 s[4:5], s[4:5], s[10:11]
	s_andn2_b64 exec, exec, s[0:1]
	s_cbranch_execz .LBB3_153
.LBB3_151:                              ; =>This Inner Loop Header: Depth=1
	v_cmp_lt_i32_e32 vcc, 0, v0
	s_or_b64 s[2:3], s[2:3], exec
	s_or_b64 s[6:7], s[6:7], exec
	s_and_saveexec_b64 s[10:11], vcc
	s_cbranch_execz .LBB3_150
; %bb.152:                              ;   in Loop: Header=BB3_151 Depth=1
	v_add_u32_e32 v0, -1, v0
	v_lshl_add_u64 v[2:3], v[0:1], 2, v[46:47]
	flat_load_dword v2, v[2:3]
	s_andn2_b64 s[6:7], s[6:7], exec
	s_andn2_b64 s[2:3], s[2:3], exec
	s_waitcnt vmcnt(0) lgkmcnt(0)
	v_cmp_ne_u32_e32 vcc, 0, v2
	s_and_b64 s[12:13], vcc, exec
	s_or_b64 s[6:7], s[6:7], s[12:13]
	s_branch .LBB3_150
.LBB3_153:
	s_or_b64 exec, exec, s[0:1]
	s_mov_b64 s[2:3], 0
	s_mov_b64 s[0:1], s[68:69]
	s_and_saveexec_b64 s[6:7], s[4:5]
	s_xor_b64 s[80:81], exec, s[6:7]
	s_cbranch_execz .LBB3_663
; %bb.154:
	v_mov_b32_e32 v1, 0
	v_mov_b32_e32 v0, v62
                                        ; implicit-def: $sgpr0_sgpr1
                                        ; implicit-def: $sgpr6_sgpr7
                                        ; implicit-def: $sgpr4_sgpr5
	s_branch .LBB3_156
.LBB3_155:                              ;   in Loop: Header=BB3_156 Depth=1
	s_or_b64 exec, exec, s[10:11]
	s_xor_b64 s[10:11], s[4:5], -1
	s_and_b64 s[12:13], exec, s[6:7]
	s_or_b64 s[2:3], s[12:13], s[2:3]
	s_andn2_b64 s[0:1], s[0:1], exec
	s_and_b64 s[10:11], s[10:11], exec
	s_or_b64 s[0:1], s[0:1], s[10:11]
	s_andn2_b64 exec, exec, s[2:3]
	s_cbranch_execz .LBB3_158
.LBB3_156:                              ; =>This Inner Loop Header: Depth=1
	v_cmp_lt_i32_e32 vcc, 0, v0
	s_or_b64 s[4:5], s[4:5], exec
	s_or_b64 s[6:7], s[6:7], exec
	s_and_saveexec_b64 s[10:11], vcc
	s_cbranch_execz .LBB3_155
; %bb.157:                              ;   in Loop: Header=BB3_156 Depth=1
	v_add_u32_e32 v0, -1, v0
	v_lshl_add_u64 v[2:3], v[0:1], 2, v[44:45]
	flat_load_dword v2, v[2:3]
	s_andn2_b64 s[6:7], s[6:7], exec
	s_andn2_b64 s[4:5], s[4:5], exec
	s_waitcnt vmcnt(0) lgkmcnt(0)
	v_cmp_ne_u32_e32 vcc, -1, v2
	s_and_b64 s[12:13], vcc, exec
	s_or_b64 s[6:7], s[6:7], s[12:13]
	s_branch .LBB3_155
.LBB3_158:
	s_or_b64 exec, exec, s[2:3]
	s_mov_b64 s[24:25], 0
	s_mov_b64 s[26:27], s[68:69]
	s_and_saveexec_b64 s[2:3], s[0:1]
	s_xor_b64 s[2:3], exec, s[2:3]
                                        ; implicit-def: $vgpr89 : SGPR spill to VGPR lane
	v_writelane_b32 v89, s2, 0
	s_nop 1
	v_writelane_b32 v89, s3, 1
	s_cbranch_execz .LBB3_509
; %bb.159:
	v_cmp_lt_i32_e32 vcc, 0, v4
	s_mov_b64 s[0:1], -1
                                        ; implicit-def: $sgpr86_sgpr87
                                        ; implicit-def: $vgpr53
	s_and_saveexec_b64 s[2:3], vcc
	s_cbranch_execz .LBB3_293
; %bb.160:
	v_cmp_lt_i32_e64 s[86:87], 0, v62
	s_mov_b64 s[4:5], 0
	s_mov_b32 s56, 0xff00ff
	s_mov_b32 s57, 0xf0f0f0f
	;; [unrolled: 1-line block ×4, first 2 shown]
                                        ; implicit-def: $sgpr6_sgpr7
	s_branch .LBB3_163
.LBB3_161:                              ;   in Loop: Header=BB3_163 Depth=1
	s_or_b64 exec, exec, s[16:17]
	s_orn2_b64 s[14:15], s[12:13], exec
	s_orn2_b64 s[12:13], s[0:1], exec
.LBB3_162:                              ;   in Loop: Header=BB3_163 Depth=1
	s_or_b64 exec, exec, s[10:11]
	s_xor_b64 s[0:1], s[14:15], -1
	s_and_b64 s[10:11], exec, s[12:13]
	s_or_b64 s[4:5], s[10:11], s[4:5]
	s_andn2_b64 s[6:7], s[6:7], exec
	s_and_b64 s[0:1], s[0:1], exec
	v_add_u32_e32 v4, -1, v4
	s_or_b64 s[6:7], s[6:7], s[0:1]
	s_andn2_b64 exec, exec, s[4:5]
	s_cbranch_execz .LBB3_292
.LBB3_163:                              ; =>This Loop Header: Depth=1
                                        ;     Child Loop BB3_170 Depth 2
                                        ;       Child Loop BB3_173 Depth 3
                                        ;     Child Loop BB3_184 Depth 2
                                        ;     Child Loop BB3_193 Depth 2
	;; [unrolled: 1-line block ×10, first 2 shown]
                                        ;       Child Loop BB3_276 Depth 3
                                        ;     Child Loop BB3_286 Depth 2
	v_cmp_lt_i32_e32 vcc, 2, v4
	s_mov_b64 s[0:1], 0
                                        ; implicit-def: $vgpr53
	s_and_saveexec_b64 s[10:11], vcc
	s_xor_b64 s[10:11], exec, s[10:11]
	s_cbranch_execz .LBB3_207
; %bb.164:                              ;   in Loop: Header=BB3_163 Depth=1
	v_cmp_lt_i32_e32 vcc, 3, v4
                                        ; implicit-def: $vgpr53
	s_and_saveexec_b64 s[12:13], vcc
	s_xor_b64 s[12:13], exec, s[12:13]
	s_cbranch_execz .LBB3_198
; %bb.165:                              ;   in Loop: Header=BB3_163 Depth=1
	v_cmp_lt_i32_e32 vcc, 4, v4
                                        ; implicit-def: $vgpr53
	s_and_saveexec_b64 s[14:15], vcc
	s_xor_b64 s[14:15], exec, s[14:15]
	s_cbranch_execz .LBB3_189
; %bb.166:                              ;   in Loop: Header=BB3_163 Depth=1
	v_cmp_ne_u32_e32 vcc, 5, v4
	s_and_saveexec_b64 s[16:17], vcc
	s_xor_b64 s[16:17], exec, s[16:17]
	s_cbranch_execz .LBB3_180
; %bb.167:                              ;   in Loop: Header=BB3_163 Depth=1
	s_mov_b64 s[0:1], -1
	s_and_saveexec_b64 s[18:19], s[86:87]
	s_cbranch_execz .LBB3_179
; %bb.168:                              ;   in Loop: Header=BB3_163 Depth=1
	v_add_u32_e32 v0, -6, v4
	v_lshlrev_b32_e64 v2, v0, 1
	v_cmp_ne_u32_e32 vcc, 31, v0
	v_lshlrev_b32_e64 v0, v0, 2
	v_ashrrev_i32_e32 v1, 31, v0
	v_ashrrev_i32_e32 v3, 31, v2
	v_max_i32_e32 v5, 1, v2
	v_lshlrev_b64 v[2:3], 2, v[2:3]
	v_lshlrev_b64 v[6:7], 2, v[0:1]
	v_mov_b32_e32 v1, 0
	s_mov_b64 s[20:21], 0
	v_mov_b64_e32 v[8:9], v[46:47]
                                        ; implicit-def: $sgpr22_sgpr23
	s_branch .LBB3_170
.LBB3_169:                              ;   in Loop: Header=BB3_170 Depth=2
	s_or_b64 exec, exec, s[28:29]
	s_xor_b64 s[0:1], s[26:27], -1
	s_and_b64 s[24:25], exec, s[24:25]
	s_or_b64 s[20:21], s[24:25], s[20:21]
	s_andn2_b64 s[22:23], s[22:23], exec
	s_and_b64 s[0:1], s[0:1], exec
	s_or_b64 s[22:23], s[22:23], s[0:1]
	s_andn2_b64 exec, exec, s[20:21]
	s_cbranch_execz .LBB3_178
.LBB3_170:                              ;   Parent Loop BB3_163 Depth=1
                                        ; =>  This Loop Header: Depth=2
                                        ;       Child Loop BB3_173 Depth 3
	s_mov_b64 s[24:25], -1
	s_mov_b64 s[0:1], -1
	s_and_saveexec_b64 s[26:27], vcc
	s_cbranch_execz .LBB3_176
; %bb.171:                              ;   in Loop: Header=BB3_170 Depth=2
	s_mov_b64 s[28:29], 0
	v_mov_b64_e32 v[10:11], v[8:9]
	v_mov_b32_e32 v12, v5
                                        ; implicit-def: $sgpr40_sgpr41
                                        ; implicit-def: $sgpr44_sgpr45
                                        ; implicit-def: $sgpr42_sgpr43
	s_branch .LBB3_173
.LBB3_172:                              ;   in Loop: Header=BB3_173 Depth=3
	s_or_b64 exec, exec, s[46:47]
	s_xor_b64 s[0:1], s[42:43], -1
	s_and_b64 s[46:47], exec, s[44:45]
	s_or_b64 s[28:29], s[46:47], s[28:29]
	s_andn2_b64 s[40:41], s[40:41], exec
	s_and_b64 s[0:1], s[0:1], exec
	s_or_b64 s[40:41], s[40:41], s[0:1]
	s_andn2_b64 exec, exec, s[28:29]
	s_cbranch_execz .LBB3_175
.LBB3_173:                              ;   Parent Loop BB3_163 Depth=1
                                        ;     Parent Loop BB3_170 Depth=2
                                        ; =>    This Inner Loop Header: Depth=3
	v_lshl_add_u64 v[14:15], v[10:11], 0, v[2:3]
	flat_load_dword v13, v[10:11]
	s_nop 0
	flat_load_dword v14, v[14:15]
	s_or_b64 s[42:43], s[42:43], exec
	s_or_b64 s[44:45], s[44:45], exec
	s_waitcnt vmcnt(0) lgkmcnt(0)
	v_cmp_eq_u32_e64 s[0:1], v13, v14
	s_and_saveexec_b64 s[46:47], s[0:1]
	s_cbranch_execz .LBB3_172
; %bb.174:                              ;   in Loop: Header=BB3_173 Depth=3
	v_add_u32_e32 v12, -1, v12
	v_cmp_eq_u32_e64 s[0:1], 0, v12
	s_andn2_b64 s[44:45], s[44:45], exec
	s_and_b64 s[0:1], s[0:1], exec
	v_lshl_add_u64 v[10:11], v[10:11], 0, 4
	s_andn2_b64 s[42:43], s[42:43], exec
	s_or_b64 s[44:45], s[44:45], s[0:1]
	s_branch .LBB3_172
.LBB3_175:                              ;   in Loop: Header=BB3_170 Depth=2
	s_or_b64 exec, exec, s[28:29]
	s_orn2_b64 s[0:1], s[40:41], exec
.LBB3_176:                              ;   in Loop: Header=BB3_170 Depth=2
	s_or_b64 exec, exec, s[26:27]
	s_mov_b64 s[26:27], -1
	s_and_saveexec_b64 s[28:29], s[0:1]
	s_cbranch_execz .LBB3_169
; %bb.177:                              ;   in Loop: Header=BB3_170 Depth=2
	v_add_u32_e32 v1, v1, v0
	v_cmp_ge_i32_e64 s[0:1], v1, v62
	v_lshl_add_u64 v[8:9], v[8:9], 0, v[6:7]
	s_xor_b64 s[26:27], exec, -1
	s_orn2_b64 s[24:25], s[0:1], exec
	s_branch .LBB3_169
.LBB3_178:                              ;   in Loop: Header=BB3_163 Depth=1
	s_or_b64 exec, exec, s[20:21]
	s_orn2_b64 s[0:1], s[22:23], exec
.LBB3_179:                              ;   in Loop: Header=BB3_163 Depth=1
	s_or_b64 exec, exec, s[18:19]
	s_and_b64 s[0:1], s[0:1], exec
.LBB3_180:                              ;   in Loop: Header=BB3_163 Depth=1
	s_or_saveexec_b64 s[16:17], s[16:17]
	v_mov_b32_e32 v53, v4
	s_xor_b64 exec, exec, s[16:17]
	s_cbranch_execz .LBB3_188
; %bb.181:                              ;   in Loop: Header=BB3_163 Depth=1
	s_mov_b64 s[20:21], -1
	s_and_saveexec_b64 s[18:19], s[86:87]
	s_cbranch_execz .LBB3_187
; %bb.182:                              ;   in Loop: Header=BB3_163 Depth=1
	s_mov_b64 s[20:21], 0
	v_mov_b64_e32 v[0:1], v[46:47]
	v_mov_b32_e32 v2, v62
                                        ; implicit-def: $sgpr22_sgpr23
                                        ; implicit-def: $sgpr26_sgpr27
                                        ; implicit-def: $sgpr24_sgpr25
	s_branch .LBB3_184
.LBB3_183:                              ;   in Loop: Header=BB3_184 Depth=2
	s_or_b64 exec, exec, s[28:29]
	s_xor_b64 s[28:29], s[24:25], -1
	s_and_b64 s[40:41], exec, s[26:27]
	s_or_b64 s[20:21], s[40:41], s[20:21]
	s_andn2_b64 s[22:23], s[22:23], exec
	s_and_b64 s[28:29], s[28:29], exec
	s_or_b64 s[22:23], s[22:23], s[28:29]
	s_andn2_b64 exec, exec, s[20:21]
	s_cbranch_execz .LBB3_186
.LBB3_184:                              ;   Parent Loop BB3_163 Depth=1
                                        ; =>  This Inner Loop Header: Depth=2
	flat_load_dword v3, v[0:1]
	s_or_b64 s[24:25], s[24:25], exec
	s_or_b64 s[26:27], s[26:27], exec
	s_waitcnt vmcnt(0) lgkmcnt(0)
	v_cmp_eq_u32_sdwa s[40:41], v3, v3 src0_sel:WORD_0 src1_sel:WORD_1
	s_and_saveexec_b64 s[28:29], s[40:41]
	s_cbranch_execz .LBB3_183
; %bb.185:                              ;   in Loop: Header=BB3_184 Depth=2
	v_add_u32_e32 v2, -1, v2
	v_cmp_eq_u32_e32 vcc, 0, v2
	s_andn2_b64 s[26:27], s[26:27], exec
	s_and_b64 s[40:41], vcc, exec
	v_lshl_add_u64 v[0:1], v[0:1], 0, 4
	s_andn2_b64 s[24:25], s[24:25], exec
	s_or_b64 s[26:27], s[26:27], s[40:41]
	s_branch .LBB3_183
.LBB3_186:                              ;   in Loop: Header=BB3_163 Depth=1
	s_or_b64 exec, exec, s[20:21]
	s_orn2_b64 s[20:21], s[22:23], exec
.LBB3_187:                              ;   in Loop: Header=BB3_163 Depth=1
	s_or_b64 exec, exec, s[18:19]
	s_andn2_b64 s[0:1], s[0:1], exec
	s_and_b64 s[18:19], s[20:21], exec
	v_mov_b32_e32 v53, 5
	s_or_b64 s[0:1], s[0:1], s[18:19]
.LBB3_188:                              ;   in Loop: Header=BB3_163 Depth=1
	s_or_b64 exec, exec, s[16:17]
	s_and_b64 s[0:1], s[0:1], exec
.LBB3_189:                              ;   in Loop: Header=BB3_163 Depth=1
	s_andn2_saveexec_b64 s[14:15], s[14:15]
	s_cbranch_execz .LBB3_197
; %bb.190:                              ;   in Loop: Header=BB3_163 Depth=1
	s_mov_b64 s[18:19], -1
	s_and_saveexec_b64 s[16:17], s[86:87]
	s_cbranch_execz .LBB3_196
; %bb.191:                              ;   in Loop: Header=BB3_163 Depth=1
	s_mov_b64 s[18:19], 0
	v_mov_b64_e32 v[0:1], v[46:47]
	v_mov_b32_e32 v2, v62
                                        ; implicit-def: $sgpr20_sgpr21
                                        ; implicit-def: $sgpr24_sgpr25
                                        ; implicit-def: $sgpr22_sgpr23
	s_branch .LBB3_193
.LBB3_192:                              ;   in Loop: Header=BB3_193 Depth=2
	s_or_b64 exec, exec, s[26:27]
	s_xor_b64 s[26:27], s[22:23], -1
	s_and_b64 s[28:29], exec, s[24:25]
	s_or_b64 s[18:19], s[28:29], s[18:19]
	s_andn2_b64 s[20:21], s[20:21], exec
	s_and_b64 s[26:27], s[26:27], exec
	s_or_b64 s[20:21], s[20:21], s[26:27]
	s_andn2_b64 exec, exec, s[18:19]
	s_cbranch_execz .LBB3_195
.LBB3_193:                              ;   Parent Loop BB3_163 Depth=1
                                        ; =>  This Inner Loop Header: Depth=2
	flat_load_dword v3, v[0:1]
	s_or_b64 s[22:23], s[22:23], exec
	s_or_b64 s[24:25], s[24:25], exec
	s_waitcnt vmcnt(0) lgkmcnt(0)
	v_lshrrev_b32_e32 v5, 8, v3
	v_bitop3_b32 v3, v5, s56, v3 bitop3:0x48
	v_cmp_eq_u32_e32 vcc, 0, v3
	s_and_saveexec_b64 s[26:27], vcc
	s_cbranch_execz .LBB3_192
; %bb.194:                              ;   in Loop: Header=BB3_193 Depth=2
	v_add_u32_e32 v2, -1, v2
	v_cmp_eq_u32_e32 vcc, 0, v2
	s_andn2_b64 s[24:25], s[24:25], exec
	s_and_b64 s[28:29], vcc, exec
	v_lshl_add_u64 v[0:1], v[0:1], 0, 4
	s_andn2_b64 s[22:23], s[22:23], exec
	s_or_b64 s[24:25], s[24:25], s[28:29]
	s_branch .LBB3_192
.LBB3_195:                              ;   in Loop: Header=BB3_163 Depth=1
	s_or_b64 exec, exec, s[18:19]
	s_orn2_b64 s[18:19], s[20:21], exec
.LBB3_196:                              ;   in Loop: Header=BB3_163 Depth=1
	s_or_b64 exec, exec, s[16:17]
	s_andn2_b64 s[0:1], s[0:1], exec
	s_and_b64 s[16:17], s[18:19], exec
	v_mov_b32_e32 v53, 4
	s_or_b64 s[0:1], s[0:1], s[16:17]
.LBB3_197:                              ;   in Loop: Header=BB3_163 Depth=1
	s_or_b64 exec, exec, s[14:15]
	s_and_b64 s[0:1], s[0:1], exec
.LBB3_198:                              ;   in Loop: Header=BB3_163 Depth=1
	s_andn2_saveexec_b64 s[12:13], s[12:13]
	s_cbranch_execz .LBB3_206
; %bb.199:                              ;   in Loop: Header=BB3_163 Depth=1
	s_mov_b64 s[16:17], -1
	s_and_saveexec_b64 s[14:15], s[86:87]
	s_cbranch_execz .LBB3_205
; %bb.200:                              ;   in Loop: Header=BB3_163 Depth=1
	s_mov_b64 s[16:17], 0
	v_mov_b64_e32 v[0:1], v[46:47]
	v_mov_b32_e32 v2, v62
                                        ; implicit-def: $sgpr18_sgpr19
                                        ; implicit-def: $sgpr22_sgpr23
                                        ; implicit-def: $sgpr20_sgpr21
	s_branch .LBB3_202
.LBB3_201:                              ;   in Loop: Header=BB3_202 Depth=2
	s_or_b64 exec, exec, s[24:25]
	s_xor_b64 s[24:25], s[20:21], -1
	s_and_b64 s[26:27], exec, s[22:23]
	s_or_b64 s[16:17], s[26:27], s[16:17]
	s_andn2_b64 s[18:19], s[18:19], exec
	s_and_b64 s[24:25], s[24:25], exec
	s_or_b64 s[18:19], s[18:19], s[24:25]
	s_andn2_b64 exec, exec, s[16:17]
	s_cbranch_execz .LBB3_204
.LBB3_202:                              ;   Parent Loop BB3_163 Depth=1
                                        ; =>  This Inner Loop Header: Depth=2
	flat_load_dword v3, v[0:1]
	s_or_b64 s[20:21], s[20:21], exec
	s_or_b64 s[22:23], s[22:23], exec
	s_waitcnt vmcnt(0) lgkmcnt(0)
	v_lshrrev_b32_e32 v5, 4, v3
	v_bitop3_b32 v3, v5, s57, v3 bitop3:0x48
	v_cmp_eq_u32_e32 vcc, 0, v3
	s_and_saveexec_b64 s[24:25], vcc
	s_cbranch_execz .LBB3_201
; %bb.203:                              ;   in Loop: Header=BB3_202 Depth=2
	v_add_u32_e32 v2, -1, v2
	v_cmp_eq_u32_e32 vcc, 0, v2
	s_andn2_b64 s[22:23], s[22:23], exec
	s_and_b64 s[26:27], vcc, exec
	v_lshl_add_u64 v[0:1], v[0:1], 0, 4
	s_andn2_b64 s[20:21], s[20:21], exec
	s_or_b64 s[22:23], s[22:23], s[26:27]
	s_branch .LBB3_201
.LBB3_204:                              ;   in Loop: Header=BB3_163 Depth=1
	s_or_b64 exec, exec, s[16:17]
	s_orn2_b64 s[16:17], s[18:19], exec
.LBB3_205:                              ;   in Loop: Header=BB3_163 Depth=1
	s_or_b64 exec, exec, s[14:15]
	s_andn2_b64 s[0:1], s[0:1], exec
	s_and_b64 s[14:15], s[16:17], exec
	v_mov_b32_e32 v53, 3
	s_or_b64 s[0:1], s[0:1], s[14:15]
.LBB3_206:                              ;   in Loop: Header=BB3_163 Depth=1
	s_or_b64 exec, exec, s[12:13]
	s_and_b64 s[0:1], s[0:1], exec
.LBB3_207:                              ;   in Loop: Header=BB3_163 Depth=1
	s_andn2_saveexec_b64 s[10:11], s[10:11]
	s_cbranch_execz .LBB3_225
; %bb.208:                              ;   in Loop: Header=BB3_163 Depth=1
	v_cmp_lt_i32_e32 vcc, 1, v4
	s_mov_b64 s[12:13], s[0:1]
	s_and_saveexec_b64 s[14:15], vcc
	s_xor_b64 s[14:15], exec, s[14:15]
	s_cbranch_execz .LBB3_216
; %bb.209:                              ;   in Loop: Header=BB3_163 Depth=1
	s_mov_b64 s[16:17], -1
	s_and_saveexec_b64 s[12:13], s[86:87]
	s_cbranch_execz .LBB3_215
; %bb.210:                              ;   in Loop: Header=BB3_163 Depth=1
	s_mov_b64 s[16:17], 0
	v_mov_b64_e32 v[0:1], v[46:47]
	v_mov_b32_e32 v2, v62
                                        ; implicit-def: $sgpr18_sgpr19
                                        ; implicit-def: $sgpr22_sgpr23
                                        ; implicit-def: $sgpr20_sgpr21
	s_branch .LBB3_212
.LBB3_211:                              ;   in Loop: Header=BB3_212 Depth=2
	s_or_b64 exec, exec, s[24:25]
	s_xor_b64 s[24:25], s[20:21], -1
	s_and_b64 s[26:27], exec, s[22:23]
	s_or_b64 s[16:17], s[26:27], s[16:17]
	s_andn2_b64 s[18:19], s[18:19], exec
	s_and_b64 s[24:25], s[24:25], exec
	s_or_b64 s[18:19], s[18:19], s[24:25]
	s_andn2_b64 exec, exec, s[16:17]
	s_cbranch_execz .LBB3_214
.LBB3_212:                              ;   Parent Loop BB3_163 Depth=1
                                        ; =>  This Inner Loop Header: Depth=2
	flat_load_dword v3, v[0:1]
	s_or_b64 s[20:21], s[20:21], exec
	s_or_b64 s[22:23], s[22:23], exec
	s_waitcnt vmcnt(0) lgkmcnt(0)
	v_lshrrev_b32_e32 v5, 2, v3
	v_bitop3_b32 v3, v5, s58, v3 bitop3:0x48
	v_cmp_eq_u32_e32 vcc, 0, v3
	s_and_saveexec_b64 s[24:25], vcc
	s_cbranch_execz .LBB3_211
; %bb.213:                              ;   in Loop: Header=BB3_212 Depth=2
	v_add_u32_e32 v2, -1, v2
	v_cmp_eq_u32_e32 vcc, 0, v2
	s_andn2_b64 s[22:23], s[22:23], exec
	s_and_b64 s[26:27], vcc, exec
	v_lshl_add_u64 v[0:1], v[0:1], 0, 4
	s_andn2_b64 s[20:21], s[20:21], exec
	s_or_b64 s[22:23], s[22:23], s[26:27]
	s_branch .LBB3_211
.LBB3_214:                              ;   in Loop: Header=BB3_163 Depth=1
	s_or_b64 exec, exec, s[16:17]
	s_orn2_b64 s[16:17], s[18:19], exec
.LBB3_215:                              ;   in Loop: Header=BB3_163 Depth=1
	s_or_b64 exec, exec, s[12:13]
	s_andn2_b64 s[12:13], s[0:1], exec
	s_and_b64 s[16:17], s[16:17], exec
	s_or_b64 s[12:13], s[12:13], s[16:17]
.LBB3_216:                              ;   in Loop: Header=BB3_163 Depth=1
	s_or_saveexec_b64 s[14:15], s[14:15]
	v_mov_b32_e32 v53, 2
	s_xor_b64 exec, exec, s[14:15]
	s_cbranch_execz .LBB3_224
; %bb.217:                              ;   in Loop: Header=BB3_163 Depth=1
	s_mov_b64 s[18:19], -1
	s_and_saveexec_b64 s[16:17], s[86:87]
	s_cbranch_execz .LBB3_223
; %bb.218:                              ;   in Loop: Header=BB3_163 Depth=1
	s_mov_b64 s[18:19], 0
	v_mov_b64_e32 v[0:1], v[46:47]
	v_mov_b32_e32 v2, v62
                                        ; implicit-def: $sgpr20_sgpr21
                                        ; implicit-def: $sgpr24_sgpr25
                                        ; implicit-def: $sgpr22_sgpr23
	s_branch .LBB3_220
.LBB3_219:                              ;   in Loop: Header=BB3_220 Depth=2
	s_or_b64 exec, exec, s[26:27]
	s_xor_b64 s[26:27], s[22:23], -1
	s_and_b64 s[28:29], exec, s[24:25]
	s_or_b64 s[18:19], s[28:29], s[18:19]
	s_andn2_b64 s[20:21], s[20:21], exec
	s_and_b64 s[26:27], s[26:27], exec
	s_or_b64 s[20:21], s[20:21], s[26:27]
	s_andn2_b64 exec, exec, s[18:19]
	s_cbranch_execz .LBB3_222
.LBB3_220:                              ;   Parent Loop BB3_163 Depth=1
                                        ; =>  This Inner Loop Header: Depth=2
	flat_load_dword v3, v[0:1]
	s_or_b64 s[22:23], s[22:23], exec
	s_or_b64 s[24:25], s[24:25], exec
	s_waitcnt vmcnt(0) lgkmcnt(0)
	v_lshrrev_b32_e32 v5, 1, v3
	v_bitop3_b32 v3, v5, s59, v3 bitop3:0x48
	v_cmp_eq_u32_e32 vcc, 0, v3
	s_and_saveexec_b64 s[26:27], vcc
	s_cbranch_execz .LBB3_219
; %bb.221:                              ;   in Loop: Header=BB3_220 Depth=2
	v_add_u32_e32 v2, -1, v2
	v_cmp_eq_u32_e32 vcc, 0, v2
	s_andn2_b64 s[24:25], s[24:25], exec
	s_and_b64 s[28:29], vcc, exec
	v_lshl_add_u64 v[0:1], v[0:1], 0, 4
	s_andn2_b64 s[22:23], s[22:23], exec
	s_or_b64 s[24:25], s[24:25], s[28:29]
	s_branch .LBB3_219
.LBB3_222:                              ;   in Loop: Header=BB3_163 Depth=1
	s_or_b64 exec, exec, s[18:19]
	s_orn2_b64 s[18:19], s[20:21], exec
.LBB3_223:                              ;   in Loop: Header=BB3_163 Depth=1
	s_or_b64 exec, exec, s[16:17]
	s_andn2_b64 s[12:13], s[12:13], exec
	s_and_b64 s[16:17], s[18:19], exec
	v_mov_b32_e32 v53, 1
	s_or_b64 s[12:13], s[12:13], s[16:17]
.LBB3_224:                              ;   in Loop: Header=BB3_163 Depth=1
	s_or_b64 exec, exec, s[14:15]
	s_andn2_b64 s[0:1], s[0:1], exec
	s_and_b64 s[12:13], s[12:13], exec
	s_or_b64 s[0:1], s[0:1], s[12:13]
.LBB3_225:                              ;   in Loop: Header=BB3_163 Depth=1
	s_or_b64 exec, exec, s[10:11]
	s_mov_b64 s[12:13], -1
	s_mov_b64 s[14:15], -1
	s_and_saveexec_b64 s[10:11], s[0:1]
	s_cbranch_execz .LBB3_162
; %bb.226:                              ;   in Loop: Header=BB3_163 Depth=1
	v_cmp_lt_i32_e32 vcc, 2, v4
	s_mov_b64 s[12:13], 0
	s_mov_b64 s[18:19], 0
	s_mov_b64 s[14:15], 0
                                        ; implicit-def: $vgpr53
	s_and_saveexec_b64 s[0:1], vcc
	s_xor_b64 s[0:1], exec, s[0:1]
	s_cbranch_execnz .LBB3_230
; %bb.227:                              ;   in Loop: Header=BB3_163 Depth=1
	s_andn2_saveexec_b64 s[0:1], s[0:1]
	s_cbranch_execnz .LBB3_259
.LBB3_228:                              ;   in Loop: Header=BB3_163 Depth=1
	s_or_b64 exec, exec, s[0:1]
	s_and_saveexec_b64 s[16:17], s[18:19]
	s_cbranch_execnz .LBB3_270
.LBB3_229:                              ;   in Loop: Header=BB3_163 Depth=1
	s_or_b64 exec, exec, s[16:17]
	s_and_saveexec_b64 s[0:1], s[12:13]
	s_xor_b64 s[0:1], exec, s[0:1]
	s_cbranch_execnz .LBB3_283
	s_branch .LBB3_290
.LBB3_230:                              ;   in Loop: Header=BB3_163 Depth=1
	v_cmp_lt_i32_e32 vcc, 3, v4
	s_mov_b64 s[16:17], 0
                                        ; implicit-def: $vgpr53
	s_and_saveexec_b64 s[14:15], vcc
	s_xor_b64 s[14:15], exec, s[14:15]
	s_cbranch_execz .LBB3_250
; %bb.231:                              ;   in Loop: Header=BB3_163 Depth=1
	v_cmp_lt_i32_e32 vcc, 4, v4
	s_and_saveexec_b64 s[20:21], vcc
	s_xor_b64 s[20:21], exec, s[20:21]
	s_cbranch_execz .LBB3_241
; %bb.232:                              ;   in Loop: Header=BB3_163 Depth=1
	v_cmp_eq_u32_e32 vcc, 5, v4
	s_mov_b64 s[22:23], -1
	s_and_saveexec_b64 s[16:17], vcc
	s_cbranch_execz .LBB3_240
; %bb.233:                              ;   in Loop: Header=BB3_163 Depth=1
	s_and_saveexec_b64 s[18:19], s[86:87]
	s_cbranch_execz .LBB3_239
; %bb.234:                              ;   in Loop: Header=BB3_163 Depth=1
	s_mov_b64 s[22:23], 0
	v_mov_b64_e32 v[0:1], v[44:45]
	v_mov_b32_e32 v2, v62
                                        ; implicit-def: $sgpr24_sgpr25
                                        ; implicit-def: $sgpr28_sgpr29
                                        ; implicit-def: $sgpr26_sgpr27
	s_branch .LBB3_236
.LBB3_235:                              ;   in Loop: Header=BB3_236 Depth=2
	s_or_b64 exec, exec, s[40:41]
	s_xor_b64 s[40:41], s[26:27], -1
	s_and_b64 s[42:43], exec, s[28:29]
	s_or_b64 s[22:23], s[42:43], s[22:23]
	s_andn2_b64 s[24:25], s[24:25], exec
	s_and_b64 s[40:41], s[40:41], exec
	s_or_b64 s[24:25], s[24:25], s[40:41]
	s_andn2_b64 exec, exec, s[22:23]
	s_cbranch_execz .LBB3_238
.LBB3_236:                              ;   Parent Loop BB3_163 Depth=1
                                        ; =>  This Inner Loop Header: Depth=2
	flat_load_dword v3, v[0:1]
	s_or_b64 s[26:27], s[26:27], exec
	s_or_b64 s[28:29], s[28:29], exec
	s_waitcnt vmcnt(0) lgkmcnt(0)
	v_cmp_eq_u32_sdwa s[42:43], v3, v3 src0_sel:WORD_0 src1_sel:WORD_1
	s_and_saveexec_b64 s[40:41], s[42:43]
	s_cbranch_execz .LBB3_235
; %bb.237:                              ;   in Loop: Header=BB3_236 Depth=2
	v_add_u32_e32 v2, -1, v2
	v_cmp_eq_u32_e32 vcc, 0, v2
	s_andn2_b64 s[28:29], s[28:29], exec
	s_and_b64 s[42:43], vcc, exec
	v_lshl_add_u64 v[0:1], v[0:1], 0, 4
	s_andn2_b64 s[26:27], s[26:27], exec
	s_or_b64 s[28:29], s[28:29], s[42:43]
	s_branch .LBB3_235
.LBB3_238:                              ;   in Loop: Header=BB3_163 Depth=1
	s_or_b64 exec, exec, s[22:23]
	s_orn2_b64 s[22:23], s[24:25], exec
.LBB3_239:                              ;   in Loop: Header=BB3_163 Depth=1
	s_or_b64 exec, exec, s[18:19]
	s_and_b64 s[18:19], s[22:23], exec
	s_xor_b64 s[22:23], exec, -1
.LBB3_240:                              ;   in Loop: Header=BB3_163 Depth=1
	s_or_b64 exec, exec, s[16:17]
	s_and_b64 s[18:19], s[18:19], exec
	s_and_b64 s[16:17], s[22:23], exec
.LBB3_241:                              ;   in Loop: Header=BB3_163 Depth=1
	s_or_saveexec_b64 s[20:21], s[20:21]
	v_mov_b32_e32 v53, 5
	s_xor_b64 exec, exec, s[20:21]
	s_cbranch_execz .LBB3_249
; %bb.242:                              ;   in Loop: Header=BB3_163 Depth=1
	s_mov_b64 s[24:25], -1
	s_and_saveexec_b64 s[22:23], s[86:87]
	s_cbranch_execz .LBB3_248
; %bb.243:                              ;   in Loop: Header=BB3_163 Depth=1
	s_mov_b64 s[24:25], 0
	v_mov_b64_e32 v[0:1], v[44:45]
	v_mov_b32_e32 v2, v62
                                        ; implicit-def: $sgpr26_sgpr27
                                        ; implicit-def: $sgpr40_sgpr41
                                        ; implicit-def: $sgpr28_sgpr29
	s_branch .LBB3_245
.LBB3_244:                              ;   in Loop: Header=BB3_245 Depth=2
	s_or_b64 exec, exec, s[42:43]
	s_xor_b64 s[42:43], s[28:29], -1
	s_and_b64 s[44:45], exec, s[40:41]
	s_or_b64 s[24:25], s[44:45], s[24:25]
	s_andn2_b64 s[26:27], s[26:27], exec
	s_and_b64 s[42:43], s[42:43], exec
	s_or_b64 s[26:27], s[26:27], s[42:43]
	s_andn2_b64 exec, exec, s[24:25]
	s_cbranch_execz .LBB3_247
.LBB3_245:                              ;   Parent Loop BB3_163 Depth=1
                                        ; =>  This Inner Loop Header: Depth=2
	flat_load_dword v3, v[0:1]
	s_or_b64 s[28:29], s[28:29], exec
	s_or_b64 s[40:41], s[40:41], exec
	s_waitcnt vmcnt(0) lgkmcnt(0)
	v_lshrrev_b32_e32 v5, 8, v3
	v_bitop3_b32 v3, v5, s56, v3 bitop3:0x48
	v_cmp_eq_u32_e32 vcc, 0, v3
	s_and_saveexec_b64 s[42:43], vcc
	s_cbranch_execz .LBB3_244
; %bb.246:                              ;   in Loop: Header=BB3_245 Depth=2
	v_add_u32_e32 v2, -1, v2
	v_cmp_eq_u32_e32 vcc, 0, v2
	s_andn2_b64 s[40:41], s[40:41], exec
	s_and_b64 s[44:45], vcc, exec
	v_lshl_add_u64 v[0:1], v[0:1], 0, 4
	s_andn2_b64 s[28:29], s[28:29], exec
	s_or_b64 s[40:41], s[40:41], s[44:45]
	s_branch .LBB3_244
.LBB3_247:                              ;   in Loop: Header=BB3_163 Depth=1
	s_or_b64 exec, exec, s[24:25]
	s_orn2_b64 s[24:25], s[26:27], exec
.LBB3_248:                              ;   in Loop: Header=BB3_163 Depth=1
	s_or_b64 exec, exec, s[22:23]
	s_andn2_b64 s[18:19], s[18:19], exec
	s_and_b64 s[22:23], s[24:25], exec
	v_mov_b32_e32 v53, 4
	s_or_b64 s[18:19], s[18:19], s[22:23]
.LBB3_249:                              ;   in Loop: Header=BB3_163 Depth=1
	s_or_b64 exec, exec, s[20:21]
	s_and_b64 s[18:19], s[18:19], exec
	s_and_b64 s[16:17], s[16:17], exec
.LBB3_250:                              ;   in Loop: Header=BB3_163 Depth=1
	s_andn2_saveexec_b64 s[14:15], s[14:15]
	s_cbranch_execz .LBB3_258
; %bb.251:                              ;   in Loop: Header=BB3_163 Depth=1
	s_mov_b64 s[22:23], -1
	s_and_saveexec_b64 s[20:21], s[86:87]
	s_cbranch_execz .LBB3_257
; %bb.252:                              ;   in Loop: Header=BB3_163 Depth=1
	s_mov_b64 s[22:23], 0
	v_mov_b64_e32 v[0:1], v[44:45]
	v_mov_b32_e32 v2, v62
                                        ; implicit-def: $sgpr24_sgpr25
                                        ; implicit-def: $sgpr28_sgpr29
                                        ; implicit-def: $sgpr26_sgpr27
	s_branch .LBB3_254
.LBB3_253:                              ;   in Loop: Header=BB3_254 Depth=2
	s_or_b64 exec, exec, s[40:41]
	s_xor_b64 s[40:41], s[26:27], -1
	s_and_b64 s[42:43], exec, s[28:29]
	s_or_b64 s[22:23], s[42:43], s[22:23]
	s_andn2_b64 s[24:25], s[24:25], exec
	s_and_b64 s[40:41], s[40:41], exec
	s_or_b64 s[24:25], s[24:25], s[40:41]
	s_andn2_b64 exec, exec, s[22:23]
	s_cbranch_execz .LBB3_256
.LBB3_254:                              ;   Parent Loop BB3_163 Depth=1
                                        ; =>  This Inner Loop Header: Depth=2
	flat_load_dword v3, v[0:1]
	s_or_b64 s[26:27], s[26:27], exec
	s_or_b64 s[28:29], s[28:29], exec
	s_waitcnt vmcnt(0) lgkmcnt(0)
	v_lshrrev_b32_e32 v5, 4, v3
	v_bitop3_b32 v3, v5, s57, v3 bitop3:0x48
	v_cmp_eq_u32_e32 vcc, 0, v3
	s_and_saveexec_b64 s[40:41], vcc
	s_cbranch_execz .LBB3_253
; %bb.255:                              ;   in Loop: Header=BB3_254 Depth=2
	v_add_u32_e32 v2, -1, v2
	v_cmp_eq_u32_e32 vcc, 0, v2
	s_andn2_b64 s[28:29], s[28:29], exec
	s_and_b64 s[42:43], vcc, exec
	v_lshl_add_u64 v[0:1], v[0:1], 0, 4
	s_andn2_b64 s[26:27], s[26:27], exec
	s_or_b64 s[28:29], s[28:29], s[42:43]
	s_branch .LBB3_253
.LBB3_256:                              ;   in Loop: Header=BB3_163 Depth=1
	s_or_b64 exec, exec, s[22:23]
	s_orn2_b64 s[22:23], s[24:25], exec
.LBB3_257:                              ;   in Loop: Header=BB3_163 Depth=1
	s_or_b64 exec, exec, s[20:21]
	s_andn2_b64 s[18:19], s[18:19], exec
	s_and_b64 s[20:21], s[22:23], exec
	v_mov_b32_e32 v53, 3
	s_or_b64 s[18:19], s[18:19], s[20:21]
.LBB3_258:                              ;   in Loop: Header=BB3_163 Depth=1
	s_or_b64 exec, exec, s[14:15]
	s_and_b64 s[14:15], s[18:19], exec
	s_and_b64 s[18:19], s[16:17], exec
	s_andn2_saveexec_b64 s[0:1], s[0:1]
	s_cbranch_execz .LBB3_228
.LBB3_259:                              ;   in Loop: Header=BB3_163 Depth=1
	v_cmp_lt_i32_e32 vcc, 1, v4
	s_mov_b64 s[16:17], s[14:15]
	s_and_saveexec_b64 s[12:13], vcc
	s_xor_b64 s[12:13], exec, s[12:13]
	s_cbranch_execz .LBB3_267
; %bb.260:                              ;   in Loop: Header=BB3_163 Depth=1
	s_mov_b64 s[20:21], -1
	s_and_saveexec_b64 s[16:17], s[86:87]
	s_cbranch_execz .LBB3_266
; %bb.261:                              ;   in Loop: Header=BB3_163 Depth=1
	s_mov_b64 s[20:21], 0
	v_mov_b64_e32 v[0:1], v[44:45]
	v_mov_b32_e32 v2, v62
                                        ; implicit-def: $sgpr22_sgpr23
                                        ; implicit-def: $sgpr26_sgpr27
                                        ; implicit-def: $sgpr24_sgpr25
	s_branch .LBB3_263
.LBB3_262:                              ;   in Loop: Header=BB3_263 Depth=2
	s_or_b64 exec, exec, s[28:29]
	s_xor_b64 s[28:29], s[24:25], -1
	s_and_b64 s[40:41], exec, s[26:27]
	s_or_b64 s[20:21], s[40:41], s[20:21]
	s_andn2_b64 s[22:23], s[22:23], exec
	s_and_b64 s[28:29], s[28:29], exec
	s_or_b64 s[22:23], s[22:23], s[28:29]
	s_andn2_b64 exec, exec, s[20:21]
	s_cbranch_execz .LBB3_265
.LBB3_263:                              ;   Parent Loop BB3_163 Depth=1
                                        ; =>  This Inner Loop Header: Depth=2
	flat_load_dword v3, v[0:1]
	s_or_b64 s[24:25], s[24:25], exec
	s_or_b64 s[26:27], s[26:27], exec
	s_waitcnt vmcnt(0) lgkmcnt(0)
	v_lshrrev_b32_e32 v5, 2, v3
	v_bitop3_b32 v3, v5, s58, v3 bitop3:0x48
	v_cmp_eq_u32_e32 vcc, 0, v3
	s_and_saveexec_b64 s[28:29], vcc
	s_cbranch_execz .LBB3_262
; %bb.264:                              ;   in Loop: Header=BB3_263 Depth=2
	v_add_u32_e32 v2, -1, v2
	v_cmp_eq_u32_e32 vcc, 0, v2
	s_andn2_b64 s[26:27], s[26:27], exec
	s_and_b64 s[40:41], vcc, exec
	v_lshl_add_u64 v[0:1], v[0:1], 0, 4
	s_andn2_b64 s[24:25], s[24:25], exec
	s_or_b64 s[26:27], s[26:27], s[40:41]
	s_branch .LBB3_262
.LBB3_265:                              ;   in Loop: Header=BB3_163 Depth=1
	s_or_b64 exec, exec, s[20:21]
	s_orn2_b64 s[20:21], s[22:23], exec
.LBB3_266:                              ;   in Loop: Header=BB3_163 Depth=1
	s_or_b64 exec, exec, s[16:17]
	s_andn2_b64 s[16:17], s[14:15], exec
	s_and_b64 s[20:21], s[20:21], exec
	s_or_b64 s[16:17], s[16:17], s[20:21]
.LBB3_267:                              ;   in Loop: Header=BB3_163 Depth=1
	s_or_saveexec_b64 s[20:21], s[12:13]
	s_mov_b64 s[12:13], 0
	s_mov_b64 s[22:23], s[18:19]
	s_xor_b64 exec, exec, s[20:21]
; %bb.268:                              ;   in Loop: Header=BB3_163 Depth=1
	v_cmp_ne_u32_e32 vcc, 1, v4
	s_andn2_b64 s[22:23], s[18:19], exec
	s_and_b64 s[24:25], vcc, exec
	s_mov_b64 s[12:13], exec
	s_or_b64 s[22:23], s[22:23], s[24:25]
; %bb.269:                              ;   in Loop: Header=BB3_163 Depth=1
	s_or_b64 exec, exec, s[20:21]
	s_andn2_b64 s[14:15], s[14:15], exec
	s_and_b64 s[16:17], s[16:17], exec
	s_or_b64 s[14:15], s[14:15], s[16:17]
	s_andn2_b64 s[16:17], s[18:19], exec
	s_and_b64 s[18:19], s[22:23], exec
	v_mov_b32_e32 v53, 2
	s_and_b64 s[12:13], s[12:13], exec
	s_or_b64 s[18:19], s[16:17], s[18:19]
	s_or_b64 exec, exec, s[0:1]
	s_and_saveexec_b64 s[16:17], s[18:19]
	s_cbranch_execz .LBB3_229
.LBB3_270:                              ;   in Loop: Header=BB3_163 Depth=1
	s_mov_b64 s[0:1], -1
	s_and_saveexec_b64 s[18:19], s[86:87]
	s_cbranch_execz .LBB3_282
; %bb.271:                              ;   in Loop: Header=BB3_163 Depth=1
	v_add_u32_e32 v0, -6, v4
	v_lshlrev_b32_e64 v2, v0, 1
	v_cmp_ne_u32_e32 vcc, 31, v0
	v_lshlrev_b32_e64 v0, v0, 2
	v_ashrrev_i32_e32 v1, 31, v0
	v_ashrrev_i32_e32 v3, 31, v2
	v_max_i32_e32 v5, 1, v2
	v_lshlrev_b64 v[2:3], 2, v[2:3]
	v_lshlrev_b64 v[6:7], 2, v[0:1]
	v_mov_b32_e32 v1, 0
	s_mov_b64 s[20:21], 0
	v_mov_b64_e32 v[8:9], v[44:45]
                                        ; implicit-def: $sgpr22_sgpr23
	s_branch .LBB3_273
.LBB3_272:                              ;   in Loop: Header=BB3_273 Depth=2
	s_or_b64 exec, exec, s[28:29]
	s_xor_b64 s[0:1], s[26:27], -1
	s_and_b64 s[24:25], exec, s[24:25]
	s_or_b64 s[20:21], s[24:25], s[20:21]
	s_andn2_b64 s[22:23], s[22:23], exec
	s_and_b64 s[0:1], s[0:1], exec
	s_or_b64 s[22:23], s[22:23], s[0:1]
	s_andn2_b64 exec, exec, s[20:21]
	s_cbranch_execz .LBB3_281
.LBB3_273:                              ;   Parent Loop BB3_163 Depth=1
                                        ; =>  This Loop Header: Depth=2
                                        ;       Child Loop BB3_276 Depth 3
	s_mov_b64 s[24:25], -1
	s_mov_b64 s[0:1], -1
	s_and_saveexec_b64 s[26:27], vcc
	s_cbranch_execz .LBB3_279
; %bb.274:                              ;   in Loop: Header=BB3_273 Depth=2
	s_mov_b64 s[28:29], 0
	v_mov_b64_e32 v[10:11], v[8:9]
	v_mov_b32_e32 v12, v5
                                        ; implicit-def: $sgpr40_sgpr41
                                        ; implicit-def: $sgpr44_sgpr45
                                        ; implicit-def: $sgpr42_sgpr43
	s_branch .LBB3_276
.LBB3_275:                              ;   in Loop: Header=BB3_276 Depth=3
	s_or_b64 exec, exec, s[46:47]
	s_xor_b64 s[0:1], s[42:43], -1
	s_and_b64 s[46:47], exec, s[44:45]
	s_or_b64 s[28:29], s[46:47], s[28:29]
	s_andn2_b64 s[40:41], s[40:41], exec
	s_and_b64 s[0:1], s[0:1], exec
	s_or_b64 s[40:41], s[40:41], s[0:1]
	s_andn2_b64 exec, exec, s[28:29]
	s_cbranch_execz .LBB3_278
.LBB3_276:                              ;   Parent Loop BB3_163 Depth=1
                                        ;     Parent Loop BB3_273 Depth=2
                                        ; =>    This Inner Loop Header: Depth=3
	v_lshl_add_u64 v[14:15], v[10:11], 0, v[2:3]
	flat_load_dword v13, v[10:11]
	s_nop 0
	flat_load_dword v14, v[14:15]
	s_or_b64 s[42:43], s[42:43], exec
	s_or_b64 s[44:45], s[44:45], exec
	s_waitcnt vmcnt(0) lgkmcnt(0)
	v_cmp_eq_u32_e64 s[0:1], v13, v14
	s_and_saveexec_b64 s[46:47], s[0:1]
	s_cbranch_execz .LBB3_275
; %bb.277:                              ;   in Loop: Header=BB3_276 Depth=3
	v_add_u32_e32 v12, -1, v12
	v_cmp_eq_u32_e64 s[0:1], 0, v12
	s_andn2_b64 s[44:45], s[44:45], exec
	s_and_b64 s[0:1], s[0:1], exec
	v_lshl_add_u64 v[10:11], v[10:11], 0, 4
	s_andn2_b64 s[42:43], s[42:43], exec
	s_or_b64 s[44:45], s[44:45], s[0:1]
	s_branch .LBB3_275
.LBB3_278:                              ;   in Loop: Header=BB3_273 Depth=2
	s_or_b64 exec, exec, s[28:29]
	s_orn2_b64 s[0:1], s[40:41], exec
.LBB3_279:                              ;   in Loop: Header=BB3_273 Depth=2
	s_or_b64 exec, exec, s[26:27]
	s_mov_b64 s[26:27], -1
	s_and_saveexec_b64 s[28:29], s[0:1]
	s_cbranch_execz .LBB3_272
; %bb.280:                              ;   in Loop: Header=BB3_273 Depth=2
	v_add_u32_e32 v1, v1, v0
	v_cmp_ge_i32_e64 s[0:1], v1, v62
	v_lshl_add_u64 v[8:9], v[8:9], 0, v[6:7]
	s_xor_b64 s[26:27], exec, -1
	s_orn2_b64 s[24:25], s[0:1], exec
	s_branch .LBB3_272
.LBB3_281:                              ;   in Loop: Header=BB3_163 Depth=1
	s_or_b64 exec, exec, s[20:21]
	s_orn2_b64 s[0:1], s[22:23], exec
.LBB3_282:                              ;   in Loop: Header=BB3_163 Depth=1
	s_or_b64 exec, exec, s[18:19]
	s_andn2_b64 s[14:15], s[14:15], exec
	s_and_b64 s[0:1], s[0:1], exec
	s_or_b64 s[14:15], s[14:15], s[0:1]
	s_andn2_b64 s[12:13], s[12:13], exec
	v_mov_b32_e32 v53, v4
	s_or_b64 exec, exec, s[16:17]
	s_and_saveexec_b64 s[0:1], s[12:13]
	s_xor_b64 s[0:1], exec, s[0:1]
	s_cbranch_execz .LBB3_290
.LBB3_283:                              ;   in Loop: Header=BB3_163 Depth=1
	s_mov_b64 s[16:17], -1
	s_and_saveexec_b64 s[12:13], s[86:87]
	s_cbranch_execz .LBB3_289
; %bb.284:                              ;   in Loop: Header=BB3_163 Depth=1
	s_mov_b64 s[16:17], 0
	v_mov_b64_e32 v[0:1], v[44:45]
	v_mov_b32_e32 v2, v62
                                        ; implicit-def: $sgpr18_sgpr19
                                        ; implicit-def: $sgpr22_sgpr23
                                        ; implicit-def: $sgpr20_sgpr21
	s_branch .LBB3_286
.LBB3_285:                              ;   in Loop: Header=BB3_286 Depth=2
	s_or_b64 exec, exec, s[24:25]
	s_xor_b64 s[24:25], s[20:21], -1
	s_and_b64 s[26:27], exec, s[22:23]
	s_or_b64 s[16:17], s[26:27], s[16:17]
	s_andn2_b64 s[18:19], s[18:19], exec
	s_and_b64 s[24:25], s[24:25], exec
	s_or_b64 s[18:19], s[18:19], s[24:25]
	s_andn2_b64 exec, exec, s[16:17]
	s_cbranch_execz .LBB3_288
.LBB3_286:                              ;   Parent Loop BB3_163 Depth=1
                                        ; =>  This Inner Loop Header: Depth=2
	flat_load_dword v3, v[0:1]
	s_or_b64 s[20:21], s[20:21], exec
	s_or_b64 s[22:23], s[22:23], exec
	s_waitcnt vmcnt(0) lgkmcnt(0)
	v_lshrrev_b32_e32 v5, 1, v3
	v_bitop3_b32 v3, v5, s59, v3 bitop3:0x48
	v_cmp_eq_u32_e32 vcc, 0, v3
	s_and_saveexec_b64 s[24:25], vcc
	s_cbranch_execz .LBB3_285
; %bb.287:                              ;   in Loop: Header=BB3_286 Depth=2
	v_add_u32_e32 v2, -1, v2
	v_cmp_eq_u32_e32 vcc, 0, v2
	s_andn2_b64 s[22:23], s[22:23], exec
	s_and_b64 s[26:27], vcc, exec
	v_lshl_add_u64 v[0:1], v[0:1], 0, 4
	s_andn2_b64 s[20:21], s[20:21], exec
	s_or_b64 s[22:23], s[22:23], s[26:27]
	s_branch .LBB3_285
.LBB3_288:                              ;   in Loop: Header=BB3_163 Depth=1
	s_or_b64 exec, exec, s[16:17]
	s_orn2_b64 s[16:17], s[18:19], exec
.LBB3_289:                              ;   in Loop: Header=BB3_163 Depth=1
	s_or_b64 exec, exec, s[12:13]
	s_andn2_b64 s[12:13], s[14:15], exec
	s_and_b64 s[14:15], s[16:17], exec
	v_mov_b32_e32 v53, 1
	s_or_b64 s[14:15], s[12:13], s[14:15]
.LBB3_290:                              ;   in Loop: Header=BB3_163 Depth=1
	s_or_b64 exec, exec, s[0:1]
	s_mov_b64 s[0:1], -1
	s_mov_b64 s[12:13], -1
	s_and_saveexec_b64 s[16:17], s[14:15]
	s_cbranch_execz .LBB3_161
; %bb.291:                              ;   in Loop: Header=BB3_163 Depth=1
	v_cmp_gt_i32_e32 vcc, 2, v4
	s_xor_b64 s[12:13], exec, -1
	s_orn2_b64 s[0:1], vcc, exec
	s_branch .LBB3_161
.LBB3_292:
	s_or_b64 exec, exec, s[4:5]
	s_mov_b64 s[24:25], exec
	s_orn2_b64 s[0:1], s[6:7], exec
.LBB3_293:
	s_or_b64 exec, exec, s[2:3]
	s_mov_b64 s[96:97], s[68:69]
	s_and_saveexec_b64 s[26:27], s[0:1]
	s_cbranch_execz .LBB3_295
; %bb.294:
	s_getpc_b64 s[0:1]
	s_add_u32 s0, s0, .str.21@rel32@lo+4
	s_addc_u32 s1, s1, .str.21@rel32@hi+12
	s_getpc_b64 s[2:3]
	s_add_u32 s2, s2, .str.16@rel32@lo+4
	s_addc_u32 s3, s3, .str.16@rel32@hi+12
	s_getpc_b64 s[4:5]
	s_add_u32 s4, s4, __PRETTY_FUNCTION__._ZN3sop13minatoIsopRecEPKjS1_iPNS_3SopEP7VecsMemIjLi8192EE@rel32@lo+4
	s_addc_u32 s5, s5, __PRETTY_FUNCTION__._ZN3sop13minatoIsopRecEPKjS1_iPNS_3SopEP7VecsMemIjLi8192EE@rel32@hi+12
	s_getpc_b64 s[6:7]
	s_add_u32 s6, s6, __assert_fail@rel32@lo+4
	s_addc_u32 s7, s7, __assert_fail@rel32@hi+12
	v_mov_b32_e32 v0, s0
	v_mov_b32_e32 v1, s1
	;; [unrolled: 1-line block ×8, first 2 shown]
	s_mov_b64 s[22:23], s[8:9]
	s_swappc_b64 s[30:31], s[6:7]
	v_mov_b32_e32 v4, v54
	s_mov_b64 s[8:9], s[22:23]
	s_or_b64 s[96:97], s[68:69], exec
	s_andn2_b64 s[24:25], s[24:25], exec
.LBB3_295:
	s_or_b64 exec, exec, s[26:27]
	s_mov_b64 s[0:1], 0
	s_mov_b64 s[2:3], exec
	v_writelane_b32 v89, s2, 4
	s_nop 1
	v_writelane_b32 v89, s3, 5
	s_and_b64 s[2:3], s[2:3], s[24:25]
	s_mov_b64 exec, s[2:3]
	s_cbranch_execz .LBB3_508
; %bb.296:
	v_cmp_lt_i32_e32 vcc, 5, v53
	s_mov_b64 s[84:85], 0
	v_writelane_b32 v89, s96, 2
	s_nop 1
	v_writelane_b32 v89, s97, 3
	s_and_saveexec_b64 s[0:1], vcc
	s_xor_b64 s[38:39], exec, s[0:1]
	s_cbranch_execz .LBB3_498
; %bb.297:
	v_add_u32_e32 v61, -6, v53
	v_lshlrev_b32_e64 v76, v61, 1
	v_ashrrev_i32_e32 v77, 31, v76
	v_cmp_ne_u32_e64 s[36:37], 31, v61
	s_and_saveexec_b64 s[0:1], s[36:37]
	s_cbranch_execz .LBB3_300
; %bb.298:
	v_add_u32_e32 v0, -1, v76
	v_mov_b32_e32 v1, 0
	v_lshlrev_b64 v[6:7], 2, v[0:1]
	v_lshl_add_u64 v[2:3], v[76:77], 2, v[6:7]
	v_add_u32_e32 v5, 1, v76
	v_lshl_add_u64 v[0:1], v[42:43], 0, v[6:7]
	v_lshl_add_u64 v[2:3], v[44:45], 0, v[2:3]
	;; [unrolled: 1-line block ×3, first 2 shown]
	s_mov_b64 s[2:3], 0
.LBB3_299:                              ; =>This Inner Loop Header: Depth=1
	flat_load_dword v8, v[6:7]
	flat_load_dword v9, v[2:3]
	v_add_u32_e32 v5, -1, v5
	v_cmp_gt_u32_e32 vcc, 2, v5
	v_lshl_add_u64 v[2:3], v[2:3], 0, -4
	v_lshl_add_u64 v[6:7], v[6:7], 0, -4
	s_or_b64 s[2:3], vcc, s[2:3]
	s_waitcnt vmcnt(0) lgkmcnt(0)
	v_bitop3_b32 v8, v8, v9, v8 bitop3:0x30
	flat_store_dword v[0:1], v8
	v_lshl_add_u64 v[0:1], v[0:1], 0, -4
	s_andn2_b64 exec, exec, s[2:3]
	s_cbranch_execnz .LBB3_299
.LBB3_300:
	s_or_b64 exec, exec, s[0:1]
	s_mov_b64 s[0:1], src_private_base
	s_getpc_b64 s[2:3]
	s_add_u32 s2, s2, _ZN3sop13minatoIsopRecEPKjS1_iPNS_3SopEP7VecsMemIjLi8192EE@rel32@lo+4
	s_addc_u32 s3, s3, _ZN3sop13minatoIsopRecEPKjS1_iPNS_3SopEP7VecsMemIjLi8192EE@rel32@hi+12
	s_add_i32 s0, s33, 0x60
	v_readlane_b32 s52, v89, 2
	v_mov_b32_e32 v0, v42
	v_mov_b32_e32 v1, v43
	v_mov_b32_e32 v2, v44
	v_mov_b32_e32 v3, v45
	v_mov_b32_e32 v5, s0
	v_mov_b32_e32 v6, s1
	v_mov_b32_e32 v7, v72
	v_mov_b32_e32 v8, v73
	v_readlane_b32 s53, v89, 3
	s_mov_b64 s[34:35], s[8:9]
	v_mov_b32_e32 v60, v4
	s_swappc_b64 s[30:31], s[2:3]
	v_mov_b32_e32 v56, v0
	v_mov_b32_e32 v57, v1
	s_and_saveexec_b64 s[0:1], s[36:37]
	s_cbranch_execz .LBB3_303
; %bb.301:
	v_add_u32_e32 v0, -1, v76
	v_mov_b32_e32 v1, 0
	v_lshlrev_b64 v[2:3], 2, v[0:1]
	v_lshl_add_u64 v[4:5], v[76:77], 2, v[2:3]
	v_add_u32_e32 v6, 1, v76
	v_lshl_add_u64 v[0:1], v[42:43], 0, v[4:5]
	v_lshl_add_u64 v[2:3], v[44:45], 0, v[2:3]
	;; [unrolled: 1-line block ×3, first 2 shown]
	s_mov_b64 s[2:3], 0
.LBB3_302:                              ; =>This Inner Loop Header: Depth=1
	flat_load_dword v7, v[4:5]
	flat_load_dword v8, v[2:3]
	v_add_u32_e32 v6, -1, v6
	v_cmp_gt_u32_e32 vcc, 2, v6
	v_lshl_add_u64 v[2:3], v[2:3], 0, -4
	v_lshl_add_u64 v[4:5], v[4:5], 0, -4
	s_or_b64 s[2:3], vcc, s[2:3]
	s_waitcnt vmcnt(0) lgkmcnt(0)
	v_bitop3_b32 v7, v7, v8, v7 bitop3:0x30
	flat_store_dword v[0:1], v7
	v_lshl_add_u64 v[0:1], v[0:1], 0, -4
	s_andn2_b64 exec, exec, s[2:3]
	s_cbranch_execnz .LBB3_302
.LBB3_303:
	s_or_b64 exec, exec, s[0:1]
	s_mov_b64 s[0:1], src_private_base
	v_lshlrev_b64 v[78:79], 2, v[76:77]
	s_getpc_b64 s[2:3]
	s_add_u32 s2, s2, _ZN3sop13minatoIsopRecEPKjS1_iPNS_3SopEP7VecsMemIjLi8192EE@rel32@lo+4
	s_addc_u32 s3, s3, _ZN3sop13minatoIsopRecEPKjS1_iPNS_3SopEP7VecsMemIjLi8192EE@rel32@hi+12
	v_lshl_add_u64 v[40:41], v[42:43], 0, v[78:79]
	s_add_i32 s0, s33, 0x70
	v_lshl_add_u64 v[2:3], v[44:45], 0, v[78:79]
	s_mov_b64 s[8:9], s[34:35]
	v_mov_b32_e32 v0, v40
	v_mov_b32_e32 v1, v41
	;; [unrolled: 1-line block ×7, first 2 shown]
	s_swappc_b64 s[30:31], s[2:3]
	v_mov_b32_e32 v58, v0
	v_mov_b32_e32 v59, v1
	s_and_saveexec_b64 s[0:1], s[36:37]
	s_cbranch_execz .LBB3_312
; %bb.304:
	v_add_u32_e32 v0, -1, v76
	v_mov_b32_e32 v1, 0
	v_lshlrev_b64 v[0:1], 2, v[0:1]
	v_add_u32_e32 v12, 1, v76
	v_lshl_add_u64 v[2:3], v[42:43], 0, v[0:1]
	v_lshl_add_u64 v[4:5], v[56:57], 0, v[0:1]
	;; [unrolled: 1-line block ×3, first 2 shown]
	s_mov_b64 s[2:3], 0
	v_mov_b64_e32 v[8:9], v[2:3]
	v_mov_b32_e32 v10, v12
.LBB3_305:                              ; =>This Inner Loop Header: Depth=1
	flat_load_dword v11, v[6:7]
	flat_load_dword v13, v[4:5]
	v_add_u32_e32 v10, -1, v10
	v_cmp_gt_u32_e32 vcc, 2, v10
	v_lshl_add_u64 v[4:5], v[4:5], 0, -4
	v_lshl_add_u64 v[6:7], v[6:7], 0, -4
	s_or_b64 s[2:3], vcc, s[2:3]
	s_waitcnt vmcnt(0) lgkmcnt(0)
	v_bitop3_b32 v11, v11, v13, v11 bitop3:0x30
	flat_store_dword v[8:9], v11
	v_lshl_add_u64 v[8:9], v[8:9], 0, -4
	s_andn2_b64 exec, exec, s[2:3]
	s_cbranch_execnz .LBB3_305
; %bb.306:
	s_or_b64 exec, exec, s[2:3]
	v_lshl_add_u64 v[8:9], v[78:79], 0, v[0:1]
	v_lshl_add_u64 v[4:5], v[42:43], 0, v[8:9]
	;; [unrolled: 1-line block ×4, first 2 shown]
	s_mov_b64 s[2:3], 0
	v_mov_b64_e32 v[10:11], v[4:5]
	v_mov_b32_e32 v13, v12
.LBB3_307:                              ; =>This Inner Loop Header: Depth=1
	flat_load_dword v14, v[8:9]
	flat_load_dword v15, v[6:7]
	v_add_u32_e32 v13, -1, v13
	v_cmp_gt_u32_e32 vcc, 2, v13
	v_lshl_add_u64 v[6:7], v[6:7], 0, -4
	v_lshl_add_u64 v[8:9], v[8:9], 0, -4
	s_or_b64 s[2:3], vcc, s[2:3]
	s_waitcnt vmcnt(0) lgkmcnt(0)
	v_bitop3_b32 v14, v14, v15, v14 bitop3:0x30
	flat_store_dword v[10:11], v14
	v_lshl_add_u64 v[10:11], v[10:11], 0, -4
	s_andn2_b64 exec, exec, s[2:3]
	s_cbranch_execnz .LBB3_307
; %bb.308:
	s_or_b64 exec, exec, s[2:3]
	s_mov_b64 s[2:3], 0
	v_mov_b32_e32 v6, v12
.LBB3_309:                              ; =>This Inner Loop Header: Depth=1
	v_lshl_add_u64 v[8:9], v[2:3], 0, v[78:79]
	flat_load_dword v7, v[2:3]
	flat_load_dword v10, v[8:9]
	v_add_u32_e32 v6, -1, v6
	v_cmp_gt_u32_e32 vcc, 2, v6
	s_or_b64 s[2:3], vcc, s[2:3]
	s_waitcnt vmcnt(0) lgkmcnt(0)
	v_or_b32_e32 v7, v10, v7
	flat_store_dword v[2:3], v7
	v_lshl_add_u64 v[2:3], v[2:3], 0, -4
	s_andn2_b64 exec, exec, s[2:3]
	s_cbranch_execnz .LBB3_309
; %bb.310:
	s_or_b64 exec, exec, s[2:3]
	v_lshl_add_u64 v[0:1], v[44:45], 0, v[0:1]
	s_mov_b64 s[2:3], 0
.LBB3_311:                              ; =>This Inner Loop Header: Depth=1
	v_lshl_add_u64 v[2:3], v[0:1], 0, v[78:79]
	flat_load_dword v6, v[0:1]
	flat_load_dword v7, v[2:3]
	v_add_u32_e32 v12, -1, v12
	v_cmp_gt_u32_e32 vcc, 2, v12
	v_lshl_add_u64 v[0:1], v[0:1], 0, -4
	s_or_b64 s[2:3], vcc, s[2:3]
	s_waitcnt vmcnt(0) lgkmcnt(0)
	v_and_b32_e32 v2, v7, v6
	flat_store_dword v[4:5], v2
	v_lshl_add_u64 v[4:5], v[4:5], 0, -4
	s_andn2_b64 exec, exec, s[2:3]
	s_cbranch_execnz .LBB3_311
.LBB3_312:
	s_or_b64 exec, exec, s[0:1]
	s_mov_b64 s[0:1], src_private_base
	s_getpc_b64 s[2:3]
	s_add_u32 s2, s2, _ZN3sop13minatoIsopRecEPKjS1_iPNS_3SopEP7VecsMemIjLi8192EE@rel32@lo+4
	s_addc_u32 s3, s3, _ZN3sop13minatoIsopRecEPKjS1_iPNS_3SopEP7VecsMemIjLi8192EE@rel32@hi+12
	s_add_i32 s0, s33, 0x80
	s_mov_b64 s[8:9], s[34:35]
	v_mov_b32_e32 v0, v42
	v_mov_b32_e32 v1, v43
	;; [unrolled: 1-line block ×9, first 2 shown]
	s_swappc_b64 s[30:31], s[2:3]
	scratch_load_dwordx2 v[70:71], off, s33 offset:96
	scratch_load_dwordx2 v[66:67], off, s33 offset:112
	;; [unrolled: 1-line block ×3, first 2 shown]
	v_mov_b32_e32 v54, v0
	v_mov_b32_e32 v55, v1
	s_mov_b64 s[0:1], -1
	v_mov_b64_e32 v[68:69], 0
	s_mov_b64 s[26:27], s[52:53]
	s_waitcnt vmcnt(1)
	v_add_u32_e32 v0, v67, v71
	v_add_u32_e32 v2, v0, v70
	s_waitcnt vmcnt(0)
	v_add_u32_e32 v1, v0, v65
	v_add3_u32 v0, v2, v66, v64
	v_cmp_lt_i32_e32 vcc, 0, v1
	flat_store_dwordx2 v[74:75], v[0:1]
	s_and_saveexec_b64 s[22:23], vcc
	s_cbranch_execz .LBB3_464
; %bb.313:
	flat_load_dword v0, v[72:73]
	s_movk_i32 s0, 0x2001
	s_mov_b64 s[24:25], 0
	v_mov_b64_e32 v[68:69], 0
	s_waitcnt vmcnt(0) lgkmcnt(0)
	v_add_u32_e32 v2, v0, v1
	v_cmp_gt_i32_e32 vcc, s0, v2
	s_and_saveexec_b64 s[0:1], vcc
	s_xor_b64 s[0:1], exec, s[0:1]
	s_cbranch_execz .LBB3_315
; %bb.314:
	v_ashrrev_i32_e32 v3, 31, v2
	v_mov_b32_e32 v5, 0
	v_mov_b32_e32 v4, v1
	flat_store_dword v[72:73], v2
	v_lshl_add_u64 v[2:3], v[2:3], 2, v[72:73]
	v_lshlrev_b64 v[0:1], 2, v[4:5]
	v_sub_co_u32_e32 v0, vcc, v2, v0
	s_mov_b64 s[24:25], exec
	s_nop 0
	v_subb_co_u32_e32 v1, vcc, v3, v1, vcc
	v_lshl_add_u64 v[68:69], v[0:1], 0, 4
.LBB3_315:
	s_or_saveexec_b64 s[26:27], s[0:1]
	s_mov_b64 s[0:1], s[52:53]
	s_xor_b64 exec, exec, s[26:27]
	s_cbranch_execz .LBB3_463
; %bb.316:
	s_load_dwordx2 s[2:3], s[34:35], 0x50
	v_mbcnt_lo_u32_b32 v0, -1, 0
	v_mbcnt_hi_u32_b32 v32, -1, v0
	s_mov_b64 s[8:9], s[34:35]
	v_readfirstlane_b32 s0, v32
	v_mov_b64_e32 v[4:5], 0
	s_nop 0
	v_cmp_eq_u32_e64 s[0:1], s0, v32
	s_and_saveexec_b64 s[4:5], s[0:1]
	s_cbranch_execz .LBB3_322
; %bb.317:
	v_mov_b32_e32 v0, 0
	s_waitcnt lgkmcnt(0)
	global_load_dwordx2 v[6:7], v0, s[2:3] offset:24 sc0 sc1
	s_waitcnt vmcnt(0)
	buffer_inv sc0 sc1
	global_load_dwordx2 v[2:3], v0, s[2:3] offset:40
	global_load_dwordx2 v[4:5], v0, s[2:3]
	s_waitcnt vmcnt(1)
	v_and_b32_e32 v1, v2, v6
	v_and_b32_e32 v2, v3, v7
	v_mul_lo_u32 v2, v2, 24
	v_mul_hi_u32 v3, v1, 24
	v_add_u32_e32 v3, v3, v2
	v_mul_lo_u32 v2, v1, 24
	s_waitcnt vmcnt(0)
	v_lshl_add_u64 v[2:3], v[4:5], 0, v[2:3]
	global_load_dwordx2 v[4:5], v[2:3], off sc0 sc1
	s_waitcnt vmcnt(0)
	global_atomic_cmpswap_x2 v[4:5], v0, v[4:7], s[2:3] offset:24 sc0 sc1
	s_waitcnt vmcnt(0)
	buffer_inv sc0 sc1
	v_cmp_ne_u64_e32 vcc, v[4:5], v[6:7]
	s_and_saveexec_b64 s[6:7], vcc
	s_cbranch_execz .LBB3_321
; %bb.318:
	s_mov_b64 s[10:11], 0
.LBB3_319:                              ; =>This Inner Loop Header: Depth=1
	s_sleep 1
	global_load_dwordx2 v[2:3], v0, s[2:3] offset:40
	global_load_dwordx2 v[8:9], v0, s[2:3]
	v_mov_b64_e32 v[6:7], v[4:5]
	s_waitcnt vmcnt(1)
	v_and_b32_e32 v2, v2, v6
	v_and_b32_e32 v1, v3, v7
	s_waitcnt vmcnt(0)
	v_mad_u64_u32 v[2:3], s[12:13], v2, 24, v[8:9]
	v_mov_b32_e32 v4, v3
	v_mad_u64_u32 v[4:5], s[12:13], v1, 24, v[4:5]
	v_mov_b32_e32 v3, v4
	global_load_dwordx2 v[4:5], v[2:3], off sc0 sc1
	s_waitcnt vmcnt(0)
	global_atomic_cmpswap_x2 v[4:5], v0, v[4:7], s[2:3] offset:24 sc0 sc1
	s_waitcnt vmcnt(0)
	buffer_inv sc0 sc1
	v_cmp_eq_u64_e32 vcc, v[4:5], v[6:7]
	s_or_b64 s[10:11], vcc, s[10:11]
	s_andn2_b64 exec, exec, s[10:11]
	s_cbranch_execnz .LBB3_319
; %bb.320:
	s_or_b64 exec, exec, s[10:11]
.LBB3_321:
	s_or_b64 exec, exec, s[6:7]
.LBB3_322:
	s_or_b64 exec, exec, s[4:5]
	v_mov_b32_e32 v27, 0
	s_waitcnt lgkmcnt(0)
	global_load_dwordx2 v[6:7], v27, s[2:3] offset:40
	global_load_dwordx4 v[0:3], v27, s[2:3]
	v_readfirstlane_b32 s5, v5
	v_readfirstlane_b32 s4, v4
	s_mov_b64 s[6:7], exec
	s_waitcnt vmcnt(0)
	v_readfirstlane_b32 s10, v6
	v_readfirstlane_b32 s11, v7
	s_and_b64 s[10:11], s[10:11], s[4:5]
	s_mul_i32 s12, s11, 24
	s_mul_hi_u32 s13, s10, 24
	s_add_i32 s13, s13, s12
	s_mul_i32 s12, s10, 24
	v_lshl_add_u64 v[4:5], v[0:1], 0, s[12:13]
	s_and_saveexec_b64 s[12:13], s[0:1]
	s_cbranch_execz .LBB3_324
; %bb.323:
	v_mov_b64_e32 v[6:7], s[6:7]
	v_mov_b32_e32 v8, 2
	v_mov_b32_e32 v9, 1
	global_store_dwordx4 v[4:5], v[6:9], off offset:8
.LBB3_324:
	s_or_b64 exec, exec, s[12:13]
	s_lshl_b64 s[6:7], s[10:11], 12
	v_lshl_add_u64 v[6:7], v[2:3], 0, s[6:7]
	s_mov_b32 s12, 0
	v_lshlrev_b32_e32 v26, 6, v32
	v_mov_b32_e32 v8, 33
	v_mov_b32_e32 v9, v27
	;; [unrolled: 1-line block ×4, first 2 shown]
	v_readfirstlane_b32 s6, v6
	v_readfirstlane_b32 s7, v7
	s_mov_b32 s13, s12
	s_mov_b32 s14, s12
	;; [unrolled: 1-line block ×3, first 2 shown]
	s_nop 1
	global_store_dwordx4 v26, v[8:11], s[6:7]
	s_nop 1
	v_mov_b64_e32 v[8:9], s[12:13]
	v_mov_b64_e32 v[10:11], s[14:15]
	global_store_dwordx4 v26, v[8:11], s[6:7] offset:16
	global_store_dwordx4 v26, v[8:11], s[6:7] offset:32
	global_store_dwordx4 v26, v[8:11], s[6:7] offset:48
	s_and_saveexec_b64 s[6:7], s[0:1]
	s_cbranch_execz .LBB3_332
; %bb.325:
	v_mov_b32_e32 v10, 0
	global_load_dwordx2 v[14:15], v10, s[2:3] offset:32 sc0 sc1
	global_load_dwordx2 v[2:3], v10, s[2:3] offset:40
	v_mov_b32_e32 v12, s4
	v_mov_b32_e32 v13, s5
	s_waitcnt vmcnt(0)
	v_and_b32_e32 v2, s4, v2
	v_and_b32_e32 v3, s5, v3
	v_mul_lo_u32 v3, v3, 24
	v_mul_hi_u32 v8, v2, 24
	v_mul_lo_u32 v2, v2, 24
	v_add_u32_e32 v3, v8, v3
	v_lshl_add_u64 v[8:9], v[0:1], 0, v[2:3]
	global_store_dwordx2 v[8:9], v[14:15], off
	buffer_wbl2 sc0 sc1
	s_waitcnt vmcnt(0)
	global_atomic_cmpswap_x2 v[2:3], v10, v[12:15], s[2:3] offset:32 sc0 sc1
	s_waitcnt vmcnt(0)
	v_cmp_ne_u64_e32 vcc, v[2:3], v[14:15]
	s_and_saveexec_b64 s[10:11], vcc
	s_cbranch_execz .LBB3_328
; %bb.326:
	s_mov_b64 s[12:13], 0
.LBB3_327:                              ; =>This Inner Loop Header: Depth=1
	s_sleep 1
	global_store_dwordx2 v[8:9], v[2:3], off
	v_mov_b32_e32 v0, s4
	v_mov_b32_e32 v1, s5
	buffer_wbl2 sc0 sc1
	s_waitcnt vmcnt(0)
	global_atomic_cmpswap_x2 v[0:1], v10, v[0:3], s[2:3] offset:32 sc0 sc1
	s_waitcnt vmcnt(0)
	v_cmp_eq_u64_e32 vcc, v[0:1], v[2:3]
	s_or_b64 s[12:13], vcc, s[12:13]
	v_mov_b64_e32 v[2:3], v[0:1]
	s_andn2_b64 exec, exec, s[12:13]
	s_cbranch_execnz .LBB3_327
.LBB3_328:
	s_or_b64 exec, exec, s[10:11]
	v_mov_b32_e32 v3, 0
	global_load_dwordx2 v[0:1], v3, s[2:3] offset:16
	s_mov_b64 s[10:11], exec
	v_mbcnt_lo_u32_b32 v2, s10, 0
	v_mbcnt_hi_u32_b32 v2, s11, v2
	v_cmp_eq_u32_e32 vcc, 0, v2
	s_and_saveexec_b64 s[12:13], vcc
	s_cbranch_execz .LBB3_330
; %bb.329:
	s_bcnt1_i32_b64 s10, s[10:11]
	v_mov_b32_e32 v2, s10
	buffer_wbl2 sc0 sc1
	s_waitcnt vmcnt(0)
	global_atomic_add_x2 v[0:1], v[2:3], off offset:8 sc1
.LBB3_330:
	s_or_b64 exec, exec, s[12:13]
	s_waitcnt vmcnt(0)
	global_load_dwordx2 v[2:3], v[0:1], off offset:16
	s_waitcnt vmcnt(0)
	v_cmp_eq_u64_e32 vcc, 0, v[2:3]
	s_cbranch_vccnz .LBB3_332
; %bb.331:
	global_load_dword v0, v[0:1], off offset:24
	v_mov_b32_e32 v1, 0
	s_waitcnt vmcnt(0)
	v_readfirstlane_b32 s10, v0
	s_and_b32 m0, s10, 0xffffff
	buffer_wbl2 sc0 sc1
	global_store_dwordx2 v[2:3], v[0:1], off sc0 sc1
	s_sendmsg sendmsg(MSG_INTERRUPT)
.LBB3_332:
	s_or_b64 exec, exec, s[6:7]
	v_lshl_add_u64 v[0:1], v[6:7], 0, v[26:27]
	s_branch .LBB3_336
.LBB3_333:                              ;   in Loop: Header=BB3_336 Depth=1
	s_or_b64 exec, exec, s[6:7]
	v_readfirstlane_b32 s6, v2
	s_cmp_eq_u32 s6, 0
	s_cbranch_scc1 .LBB3_335
; %bb.334:                              ;   in Loop: Header=BB3_336 Depth=1
	s_sleep 1
	s_cbranch_execnz .LBB3_336
	s_branch .LBB3_338
.LBB3_335:
	s_branch .LBB3_338
.LBB3_336:                              ; =>This Inner Loop Header: Depth=1
	v_mov_b32_e32 v2, 1
	s_and_saveexec_b64 s[6:7], s[0:1]
	s_cbranch_execz .LBB3_333
; %bb.337:                              ;   in Loop: Header=BB3_336 Depth=1
	global_load_dword v2, v[4:5], off offset:20 sc0 sc1
	s_waitcnt vmcnt(0)
	buffer_inv sc0 sc1
	v_and_b32_e32 v2, 1, v2
	s_branch .LBB3_333
.LBB3_338:
	global_load_dwordx2 v[0:1], v[0:1], off
	s_and_saveexec_b64 s[6:7], s[0:1]
	s_cbranch_execz .LBB3_341
; %bb.339:
	v_mov_b32_e32 v8, 0
	global_load_dwordx2 v[2:3], v8, s[2:3] offset:40
	global_load_dwordx2 v[12:13], v8, s[2:3] offset:24 sc0 sc1
	global_load_dwordx2 v[4:5], v8, s[2:3]
	s_waitcnt vmcnt(2)
	v_readfirstlane_b32 s10, v2
	v_readfirstlane_b32 s11, v3
	s_add_u32 s12, s10, 1
	s_addc_u32 s13, s11, 0
	s_add_u32 s0, s12, s4
	s_addc_u32 s1, s13, s5
	s_cmp_eq_u64 s[0:1], 0
	s_cselect_b32 s1, s13, s1
	s_cselect_b32 s0, s12, s0
	s_and_b64 s[4:5], s[0:1], s[10:11]
	s_mul_i32 s5, s5, 24
	s_mul_hi_u32 s10, s4, 24
	s_mul_i32 s4, s4, 24
	s_add_i32 s5, s10, s5
	s_waitcnt vmcnt(0)
	v_lshl_add_u64 v[6:7], v[4:5], 0, s[4:5]
	v_mov_b32_e32 v10, s0
	global_store_dwordx2 v[6:7], v[12:13], off
	v_mov_b32_e32 v11, s1
	buffer_wbl2 sc0 sc1
	s_waitcnt vmcnt(0)
	global_atomic_cmpswap_x2 v[4:5], v8, v[10:13], s[2:3] offset:24 sc0 sc1
	s_mov_b64 s[4:5], 0
	s_waitcnt vmcnt(0)
	v_cmp_ne_u64_e32 vcc, v[4:5], v[12:13]
	s_and_b64 exec, exec, vcc
	s_cbranch_execz .LBB3_341
.LBB3_340:                              ; =>This Inner Loop Header: Depth=1
	s_sleep 1
	global_store_dwordx2 v[6:7], v[4:5], off
	v_mov_b32_e32 v2, s0
	v_mov_b32_e32 v3, s1
	buffer_wbl2 sc0 sc1
	s_waitcnt vmcnt(0)
	global_atomic_cmpswap_x2 v[2:3], v8, v[2:5], s[2:3] offset:24 sc0 sc1
	s_waitcnt vmcnt(0)
	v_cmp_eq_u64_e32 vcc, v[2:3], v[4:5]
	s_or_b64 s[4:5], vcc, s[4:5]
	v_mov_b64_e32 v[4:5], v[2:3]
	s_andn2_b64 exec, exec, s[4:5]
	s_cbranch_execnz .LBB3_340
.LBB3_341:
	s_or_b64 exec, exec, s[6:7]
	s_getpc_b64 s[4:5]
	s_add_u32 s4, s4, .str.28@rel32@lo+4
	s_addc_u32 s5, s5, .str.28@rel32@hi+12
	s_cmp_lg_u64 s[4:5], 0
	s_cbranch_scc0 .LBB3_434
; %bb.342:
	s_waitcnt vmcnt(0)
	v_and_b32_e32 v6, -3, v0
	v_mov_b32_e32 v7, v1
	s_mov_b64 s[6:7], 35
	v_mov_b32_e32 v29, 0
	v_mov_b32_e32 v4, 2
	;; [unrolled: 1-line block ×3, first 2 shown]
	s_branch .LBB3_344
.LBB3_343:                              ;   in Loop: Header=BB3_344 Depth=1
	s_or_b64 exec, exec, s[14:15]
	s_sub_u32 s6, s6, s10
	s_subb_u32 s7, s7, s11
	s_add_u32 s4, s4, s10
	s_addc_u32 s5, s5, s11
	s_cmp_lg_u64 s[6:7], 0
	s_cbranch_scc0 .LBB3_433
.LBB3_344:                              ; =>This Loop Header: Depth=1
                                        ;     Child Loop BB3_347 Depth 2
                                        ;     Child Loop BB3_356 Depth 2
	;; [unrolled: 1-line block ×11, first 2 shown]
	v_cmp_lt_u64_e64 s[0:1], s[6:7], 56
	s_and_b64 s[0:1], s[0:1], exec
	s_cselect_b32 s11, s7, 0
	s_cselect_b32 s10, s6, 56
	v_cmp_gt_u64_e64 s[12:13], s[6:7], 7
	s_add_u32 s0, s4, 8
	s_addc_u32 s1, s5, 0
	s_and_b64 vcc, exec, s[12:13]
	s_cbranch_vccnz .LBB3_348
; %bb.345:                              ;   in Loop: Header=BB3_344 Depth=1
	s_cmp_eq_u64 s[6:7], 0
	s_cbranch_scc1 .LBB3_349
; %bb.346:                              ;   in Loop: Header=BB3_344 Depth=1
	s_lshl_b64 s[0:1], s[10:11], 3
	s_mov_b64 s[12:13], 0
	s_waitcnt vmcnt(0)
	v_mov_b64_e32 v[8:9], 0
	s_mov_b64 s[14:15], s[4:5]
.LBB3_347:                              ;   Parent Loop BB3_344 Depth=1
                                        ; =>  This Inner Loop Header: Depth=2
	global_load_ubyte v2, v29, s[14:15]
	s_waitcnt vmcnt(0)
	v_and_b32_e32 v28, 0xffff, v2
	v_lshlrev_b64 v[2:3], s12, v[28:29]
	s_add_u32 s12, s12, 8
	s_addc_u32 s13, s13, 0
	s_add_u32 s14, s14, 1
	s_addc_u32 s15, s15, 0
	v_or_b32_e32 v8, v2, v8
	s_cmp_lg_u32 s0, s12
	v_or_b32_e32 v9, v3, v9
	s_cbranch_scc1 .LBB3_347
	s_branch .LBB3_350
.LBB3_348:                              ;   in Loop: Header=BB3_344 Depth=1
	s_mov_b64 s[12:13], -1
	s_branch .LBB3_351
.LBB3_349:                              ;   in Loop: Header=BB3_344 Depth=1
	s_waitcnt vmcnt(0)
	v_mov_b64_e32 v[8:9], 0
.LBB3_350:                              ;   in Loop: Header=BB3_344 Depth=1
	s_mov_b64 s[12:13], 0
	s_mov_b64 s[0:1], s[4:5]
.LBB3_351:                              ;   in Loop: Header=BB3_344 Depth=1
	s_andn2_b64 vcc, exec, s[12:13]
	s_mov_b32 s16, 0
	s_cbranch_vccnz .LBB3_353
; %bb.352:                              ;   in Loop: Header=BB3_344 Depth=1
	global_load_dwordx2 v[8:9], v29, s[4:5]
	s_add_i32 s16, s10, -8
.LBB3_353:                              ;   in Loop: Header=BB3_344 Depth=1
	s_add_u32 s12, s0, 8
	s_addc_u32 s13, s1, 0
	s_cmp_gt_u32 s16, 7
	s_cbranch_scc1 .LBB3_357
; %bb.354:                              ;   in Loop: Header=BB3_344 Depth=1
	s_cmp_eq_u32 s16, 0
	s_cbranch_scc1 .LBB3_358
; %bb.355:                              ;   in Loop: Header=BB3_344 Depth=1
	s_mov_b64 s[12:13], 0
	v_mov_b64_e32 v[10:11], 0
	s_mov_b64 s[14:15], 0
.LBB3_356:                              ;   Parent Loop BB3_344 Depth=1
                                        ; =>  This Inner Loop Header: Depth=2
	s_add_u32 s18, s0, s14
	s_addc_u32 s19, s1, s15
	global_load_ubyte v2, v29, s[18:19]
	s_add_u32 s14, s14, 1
	s_addc_u32 s15, s15, 0
	s_waitcnt vmcnt(0)
	v_and_b32_e32 v28, 0xffff, v2
	v_lshlrev_b64 v[2:3], s12, v[28:29]
	s_add_u32 s12, s12, 8
	s_addc_u32 s13, s13, 0
	v_or_b32_e32 v10, v2, v10
	s_cmp_lg_u32 s16, s14
	v_or_b32_e32 v11, v3, v11
	s_cbranch_scc1 .LBB3_356
	s_branch .LBB3_359
.LBB3_357:                              ;   in Loop: Header=BB3_344 Depth=1
	s_mov_b64 s[14:15], -1
                                        ; implicit-def: $vgpr10_vgpr11
	s_branch .LBB3_360
.LBB3_358:                              ;   in Loop: Header=BB3_344 Depth=1
	v_mov_b64_e32 v[10:11], 0
.LBB3_359:                              ;   in Loop: Header=BB3_344 Depth=1
	s_mov_b64 s[14:15], 0
	s_mov_b64 s[12:13], s[0:1]
.LBB3_360:                              ;   in Loop: Header=BB3_344 Depth=1
	s_andn2_b64 vcc, exec, s[14:15]
	s_mov_b32 s17, 0
	s_cbranch_vccnz .LBB3_362
; %bb.361:                              ;   in Loop: Header=BB3_344 Depth=1
	global_load_dwordx2 v[10:11], v29, s[0:1]
	s_add_i32 s17, s16, -8
.LBB3_362:                              ;   in Loop: Header=BB3_344 Depth=1
	s_add_u32 s0, s12, 8
	s_addc_u32 s1, s13, 0
	s_cmp_gt_u32 s17, 7
	s_cbranch_scc1 .LBB3_366
; %bb.363:                              ;   in Loop: Header=BB3_344 Depth=1
	s_cmp_eq_u32 s17, 0
	s_cbranch_scc1 .LBB3_367
; %bb.364:                              ;   in Loop: Header=BB3_344 Depth=1
	s_mov_b64 s[0:1], 0
	v_mov_b64_e32 v[12:13], 0
	s_mov_b64 s[14:15], 0
.LBB3_365:                              ;   Parent Loop BB3_344 Depth=1
                                        ; =>  This Inner Loop Header: Depth=2
	s_add_u32 s18, s12, s14
	s_addc_u32 s19, s13, s15
	global_load_ubyte v2, v29, s[18:19]
	s_add_u32 s14, s14, 1
	s_addc_u32 s15, s15, 0
	s_waitcnt vmcnt(0)
	v_and_b32_e32 v28, 0xffff, v2
	v_lshlrev_b64 v[2:3], s0, v[28:29]
	s_add_u32 s0, s0, 8
	s_addc_u32 s1, s1, 0
	v_or_b32_e32 v12, v2, v12
	s_cmp_lg_u32 s17, s14
	v_or_b32_e32 v13, v3, v13
	s_cbranch_scc1 .LBB3_365
	s_branch .LBB3_368
.LBB3_366:                              ;   in Loop: Header=BB3_344 Depth=1
	s_mov_b64 s[14:15], -1
	s_branch .LBB3_369
.LBB3_367:                              ;   in Loop: Header=BB3_344 Depth=1
	v_mov_b64_e32 v[12:13], 0
.LBB3_368:                              ;   in Loop: Header=BB3_344 Depth=1
	s_mov_b64 s[14:15], 0
	s_mov_b64 s[0:1], s[12:13]
.LBB3_369:                              ;   in Loop: Header=BB3_344 Depth=1
	s_andn2_b64 vcc, exec, s[14:15]
	s_mov_b32 s16, 0
	s_cbranch_vccnz .LBB3_371
; %bb.370:                              ;   in Loop: Header=BB3_344 Depth=1
	global_load_dwordx2 v[12:13], v29, s[12:13]
	s_add_i32 s16, s17, -8
.LBB3_371:                              ;   in Loop: Header=BB3_344 Depth=1
	s_add_u32 s12, s0, 8
	s_addc_u32 s13, s1, 0
	s_cmp_gt_u32 s16, 7
	s_cbranch_scc1 .LBB3_375
; %bb.372:                              ;   in Loop: Header=BB3_344 Depth=1
	s_cmp_eq_u32 s16, 0
	s_cbranch_scc1 .LBB3_376
; %bb.373:                              ;   in Loop: Header=BB3_344 Depth=1
	s_mov_b64 s[12:13], 0
	v_mov_b64_e32 v[14:15], 0
	s_mov_b64 s[14:15], 0
.LBB3_374:                              ;   Parent Loop BB3_344 Depth=1
                                        ; =>  This Inner Loop Header: Depth=2
	s_add_u32 s18, s0, s14
	s_addc_u32 s19, s1, s15
	global_load_ubyte v2, v29, s[18:19]
	s_add_u32 s14, s14, 1
	s_addc_u32 s15, s15, 0
	s_waitcnt vmcnt(0)
	v_and_b32_e32 v28, 0xffff, v2
	v_lshlrev_b64 v[2:3], s12, v[28:29]
	s_add_u32 s12, s12, 8
	s_addc_u32 s13, s13, 0
	v_or_b32_e32 v14, v2, v14
	s_cmp_lg_u32 s16, s14
	v_or_b32_e32 v15, v3, v15
	s_cbranch_scc1 .LBB3_374
	s_branch .LBB3_377
.LBB3_375:                              ;   in Loop: Header=BB3_344 Depth=1
	s_mov_b64 s[14:15], -1
                                        ; implicit-def: $vgpr14_vgpr15
	s_branch .LBB3_378
.LBB3_376:                              ;   in Loop: Header=BB3_344 Depth=1
	v_mov_b64_e32 v[14:15], 0
.LBB3_377:                              ;   in Loop: Header=BB3_344 Depth=1
	s_mov_b64 s[14:15], 0
	s_mov_b64 s[12:13], s[0:1]
.LBB3_378:                              ;   in Loop: Header=BB3_344 Depth=1
	s_andn2_b64 vcc, exec, s[14:15]
	s_mov_b32 s17, 0
	s_cbranch_vccnz .LBB3_380
; %bb.379:                              ;   in Loop: Header=BB3_344 Depth=1
	global_load_dwordx2 v[14:15], v29, s[0:1]
	s_add_i32 s17, s16, -8
.LBB3_380:                              ;   in Loop: Header=BB3_344 Depth=1
	s_add_u32 s0, s12, 8
	s_addc_u32 s1, s13, 0
	s_cmp_gt_u32 s17, 7
	s_cbranch_scc1 .LBB3_384
; %bb.381:                              ;   in Loop: Header=BB3_344 Depth=1
	s_cmp_eq_u32 s17, 0
	s_cbranch_scc1 .LBB3_385
; %bb.382:                              ;   in Loop: Header=BB3_344 Depth=1
	s_mov_b64 s[0:1], 0
	v_mov_b64_e32 v[16:17], 0
	s_mov_b64 s[14:15], 0
.LBB3_383:                              ;   Parent Loop BB3_344 Depth=1
                                        ; =>  This Inner Loop Header: Depth=2
	s_add_u32 s18, s12, s14
	s_addc_u32 s19, s13, s15
	global_load_ubyte v2, v29, s[18:19]
	s_add_u32 s14, s14, 1
	s_addc_u32 s15, s15, 0
	s_waitcnt vmcnt(0)
	v_and_b32_e32 v28, 0xffff, v2
	v_lshlrev_b64 v[2:3], s0, v[28:29]
	s_add_u32 s0, s0, 8
	s_addc_u32 s1, s1, 0
	v_or_b32_e32 v16, v2, v16
	s_cmp_lg_u32 s17, s14
	v_or_b32_e32 v17, v3, v17
	s_cbranch_scc1 .LBB3_383
	s_branch .LBB3_386
.LBB3_384:                              ;   in Loop: Header=BB3_344 Depth=1
	s_mov_b64 s[14:15], -1
	s_branch .LBB3_387
.LBB3_385:                              ;   in Loop: Header=BB3_344 Depth=1
	v_mov_b64_e32 v[16:17], 0
.LBB3_386:                              ;   in Loop: Header=BB3_344 Depth=1
	s_mov_b64 s[14:15], 0
	s_mov_b64 s[0:1], s[12:13]
.LBB3_387:                              ;   in Loop: Header=BB3_344 Depth=1
	s_andn2_b64 vcc, exec, s[14:15]
	s_mov_b32 s16, 0
	s_cbranch_vccnz .LBB3_389
; %bb.388:                              ;   in Loop: Header=BB3_344 Depth=1
	global_load_dwordx2 v[16:17], v29, s[12:13]
	s_add_i32 s16, s17, -8
.LBB3_389:                              ;   in Loop: Header=BB3_344 Depth=1
	s_add_u32 s12, s0, 8
	s_addc_u32 s13, s1, 0
	s_cmp_gt_u32 s16, 7
	s_cbranch_scc1 .LBB3_393
; %bb.390:                              ;   in Loop: Header=BB3_344 Depth=1
	s_cmp_eq_u32 s16, 0
	s_cbranch_scc1 .LBB3_394
; %bb.391:                              ;   in Loop: Header=BB3_344 Depth=1
	s_mov_b64 s[12:13], 0
	v_mov_b64_e32 v[18:19], 0
	s_mov_b64 s[14:15], 0
.LBB3_392:                              ;   Parent Loop BB3_344 Depth=1
                                        ; =>  This Inner Loop Header: Depth=2
	s_add_u32 s18, s0, s14
	s_addc_u32 s19, s1, s15
	global_load_ubyte v2, v29, s[18:19]
	s_add_u32 s14, s14, 1
	s_addc_u32 s15, s15, 0
	s_waitcnt vmcnt(0)
	v_and_b32_e32 v28, 0xffff, v2
	v_lshlrev_b64 v[2:3], s12, v[28:29]
	s_add_u32 s12, s12, 8
	s_addc_u32 s13, s13, 0
	v_or_b32_e32 v18, v2, v18
	s_cmp_lg_u32 s16, s14
	v_or_b32_e32 v19, v3, v19
	s_cbranch_scc1 .LBB3_392
	s_branch .LBB3_395
.LBB3_393:                              ;   in Loop: Header=BB3_344 Depth=1
	s_mov_b64 s[14:15], -1
                                        ; implicit-def: $vgpr18_vgpr19
	s_branch .LBB3_396
.LBB3_394:                              ;   in Loop: Header=BB3_344 Depth=1
	v_mov_b64_e32 v[18:19], 0
.LBB3_395:                              ;   in Loop: Header=BB3_344 Depth=1
	s_mov_b64 s[14:15], 0
	s_mov_b64 s[12:13], s[0:1]
.LBB3_396:                              ;   in Loop: Header=BB3_344 Depth=1
	s_andn2_b64 vcc, exec, s[14:15]
	s_mov_b32 s17, 0
	s_cbranch_vccnz .LBB3_398
; %bb.397:                              ;   in Loop: Header=BB3_344 Depth=1
	global_load_dwordx2 v[18:19], v29, s[0:1]
	s_add_i32 s17, s16, -8
.LBB3_398:                              ;   in Loop: Header=BB3_344 Depth=1
	s_cmp_gt_u32 s17, 7
	s_cbranch_scc1 .LBB3_402
; %bb.399:                              ;   in Loop: Header=BB3_344 Depth=1
	s_cmp_eq_u32 s17, 0
	s_cbranch_scc1 .LBB3_403
; %bb.400:                              ;   in Loop: Header=BB3_344 Depth=1
	s_mov_b64 s[0:1], 0
	v_mov_b64_e32 v[20:21], 0
	s_mov_b64 s[14:15], s[12:13]
.LBB3_401:                              ;   Parent Loop BB3_344 Depth=1
                                        ; =>  This Inner Loop Header: Depth=2
	global_load_ubyte v2, v29, s[14:15]
	s_add_i32 s17, s17, -1
	s_waitcnt vmcnt(0)
	v_and_b32_e32 v28, 0xffff, v2
	v_lshlrev_b64 v[2:3], s0, v[28:29]
	s_add_u32 s0, s0, 8
	s_addc_u32 s1, s1, 0
	s_add_u32 s14, s14, 1
	s_addc_u32 s15, s15, 0
	v_or_b32_e32 v20, v2, v20
	s_cmp_lg_u32 s17, 0
	v_or_b32_e32 v21, v3, v21
	s_cbranch_scc1 .LBB3_401
	s_branch .LBB3_404
.LBB3_402:                              ;   in Loop: Header=BB3_344 Depth=1
	s_mov_b64 s[0:1], -1
	s_branch .LBB3_405
.LBB3_403:                              ;   in Loop: Header=BB3_344 Depth=1
	v_mov_b64_e32 v[20:21], 0
.LBB3_404:                              ;   in Loop: Header=BB3_344 Depth=1
	s_mov_b64 s[0:1], 0
.LBB3_405:                              ;   in Loop: Header=BB3_344 Depth=1
	s_andn2_b64 vcc, exec, s[0:1]
	s_cbranch_vccnz .LBB3_407
; %bb.406:                              ;   in Loop: Header=BB3_344 Depth=1
	global_load_dwordx2 v[20:21], v29, s[12:13]
.LBB3_407:                              ;   in Loop: Header=BB3_344 Depth=1
	v_readfirstlane_b32 s0, v32
	v_mov_b64_e32 v[2:3], 0
	s_nop 0
	v_cmp_eq_u32_e64 s[0:1], s0, v32
	s_and_saveexec_b64 s[12:13], s[0:1]
	s_cbranch_execz .LBB3_413
; %bb.408:                              ;   in Loop: Header=BB3_344 Depth=1
	global_load_dwordx2 v[24:25], v29, s[2:3] offset:24 sc0 sc1
	s_waitcnt vmcnt(0)
	buffer_inv sc0 sc1
	global_load_dwordx2 v[2:3], v29, s[2:3] offset:40
	global_load_dwordx2 v[22:23], v29, s[2:3]
	s_waitcnt vmcnt(1)
	v_and_b32_e32 v2, v2, v24
	v_and_b32_e32 v3, v3, v25
	v_mul_lo_u32 v3, v3, 24
	v_mul_hi_u32 v27, v2, 24
	v_add_u32_e32 v3, v27, v3
	v_mul_lo_u32 v2, v2, 24
	s_waitcnt vmcnt(0)
	v_lshl_add_u64 v[2:3], v[22:23], 0, v[2:3]
	global_load_dwordx2 v[22:23], v[2:3], off sc0 sc1
	s_waitcnt vmcnt(0)
	global_atomic_cmpswap_x2 v[2:3], v29, v[22:25], s[2:3] offset:24 sc0 sc1
	s_waitcnt vmcnt(0)
	buffer_inv sc0 sc1
	v_cmp_ne_u64_e32 vcc, v[2:3], v[24:25]
	s_and_saveexec_b64 s[14:15], vcc
	s_cbranch_execz .LBB3_412
; %bb.409:                              ;   in Loop: Header=BB3_344 Depth=1
	s_mov_b64 s[16:17], 0
.LBB3_410:                              ;   Parent Loop BB3_344 Depth=1
                                        ; =>  This Inner Loop Header: Depth=2
	s_sleep 1
	global_load_dwordx2 v[22:23], v29, s[2:3] offset:40
	global_load_dwordx2 v[30:31], v29, s[2:3]
	v_mov_b64_e32 v[24:25], v[2:3]
	s_waitcnt vmcnt(1)
	v_and_b32_e32 v2, v22, v24
	s_waitcnt vmcnt(0)
	v_mad_u64_u32 v[2:3], s[18:19], v2, 24, v[30:31]
	v_and_b32_e32 v23, v23, v25
	v_mov_b32_e32 v22, v3
	v_mad_u64_u32 v[22:23], s[18:19], v23, 24, v[22:23]
	v_mov_b32_e32 v3, v22
	global_load_dwordx2 v[22:23], v[2:3], off sc0 sc1
	s_waitcnt vmcnt(0)
	global_atomic_cmpswap_x2 v[2:3], v29, v[22:25], s[2:3] offset:24 sc0 sc1
	s_waitcnt vmcnt(0)
	buffer_inv sc0 sc1
	v_cmp_eq_u64_e32 vcc, v[2:3], v[24:25]
	s_or_b64 s[16:17], vcc, s[16:17]
	s_andn2_b64 exec, exec, s[16:17]
	s_cbranch_execnz .LBB3_410
; %bb.411:                              ;   in Loop: Header=BB3_344 Depth=1
	s_or_b64 exec, exec, s[16:17]
.LBB3_412:                              ;   in Loop: Header=BB3_344 Depth=1
	s_or_b64 exec, exec, s[14:15]
.LBB3_413:                              ;   in Loop: Header=BB3_344 Depth=1
	s_or_b64 exec, exec, s[12:13]
	global_load_dwordx2 v[30:31], v29, s[2:3] offset:40
	global_load_dwordx4 v[22:25], v29, s[2:3]
	v_readfirstlane_b32 s13, v3
	v_readfirstlane_b32 s12, v2
	s_mov_b64 s[14:15], exec
	s_waitcnt vmcnt(1)
	v_readfirstlane_b32 s16, v30
	v_readfirstlane_b32 s17, v31
	s_and_b64 s[16:17], s[16:17], s[12:13]
	s_mul_i32 s18, s17, 24
	s_mul_hi_u32 s19, s16, 24
	s_add_i32 s19, s19, s18
	s_mul_i32 s18, s16, 24
	s_waitcnt vmcnt(0)
	v_lshl_add_u64 v[30:31], v[22:23], 0, s[18:19]
	s_and_saveexec_b64 s[18:19], s[0:1]
	s_cbranch_execz .LBB3_415
; %bb.414:                              ;   in Loop: Header=BB3_344 Depth=1
	v_mov_b64_e32 v[2:3], s[14:15]
	global_store_dwordx4 v[30:31], v[2:5], off offset:8
.LBB3_415:                              ;   in Loop: Header=BB3_344 Depth=1
	s_or_b64 exec, exec, s[18:19]
	s_lshl_b64 s[14:15], s[16:17], 12
	v_lshl_add_u64 v[2:3], v[24:25], 0, s[14:15]
	v_cmp_gt_u64_e64 s[14:15], s[6:7], 56
	s_and_b64 s[14:15], s[14:15], exec
	s_cselect_b32 s14, 0, 2
	s_lshl_b32 s15, s10, 2
	s_add_i32 s15, s15, 28
	v_and_b32_e32 v6, 0xffffff1f, v6
	s_and_b32 s15, s15, 0x1e0
	v_or_b32_e32 v6, s14, v6
	v_or_b32_e32 v6, s15, v6
	v_readfirstlane_b32 s14, v2
	v_readfirstlane_b32 s15, v3
	s_nop 4
	global_store_dwordx4 v26, v[6:9], s[14:15]
	global_store_dwordx4 v26, v[10:13], s[14:15] offset:16
	global_store_dwordx4 v26, v[14:17], s[14:15] offset:32
	;; [unrolled: 1-line block ×3, first 2 shown]
	s_and_saveexec_b64 s[14:15], s[0:1]
	s_cbranch_execz .LBB3_423
; %bb.416:                              ;   in Loop: Header=BB3_344 Depth=1
	global_load_dwordx2 v[14:15], v29, s[2:3] offset:32 sc0 sc1
	global_load_dwordx2 v[6:7], v29, s[2:3] offset:40
	v_mov_b32_e32 v12, s12
	v_mov_b32_e32 v13, s13
	s_waitcnt vmcnt(0)
	v_readfirstlane_b32 s16, v6
	v_readfirstlane_b32 s17, v7
	s_and_b64 s[16:17], s[16:17], s[12:13]
	s_mul_i32 s17, s17, 24
	s_mul_hi_u32 s18, s16, 24
	s_mul_i32 s16, s16, 24
	s_add_i32 s17, s18, s17
	v_lshl_add_u64 v[10:11], v[22:23], 0, s[16:17]
	global_store_dwordx2 v[10:11], v[14:15], off
	buffer_wbl2 sc0 sc1
	s_waitcnt vmcnt(0)
	global_atomic_cmpswap_x2 v[8:9], v29, v[12:15], s[2:3] offset:32 sc0 sc1
	s_waitcnt vmcnt(0)
	v_cmp_ne_u64_e32 vcc, v[8:9], v[14:15]
	s_and_saveexec_b64 s[16:17], vcc
	s_cbranch_execz .LBB3_419
; %bb.417:                              ;   in Loop: Header=BB3_344 Depth=1
	s_mov_b64 s[18:19], 0
.LBB3_418:                              ;   Parent Loop BB3_344 Depth=1
                                        ; =>  This Inner Loop Header: Depth=2
	s_sleep 1
	global_store_dwordx2 v[10:11], v[8:9], off
	v_mov_b32_e32 v6, s12
	v_mov_b32_e32 v7, s13
	buffer_wbl2 sc0 sc1
	s_waitcnt vmcnt(0)
	global_atomic_cmpswap_x2 v[6:7], v29, v[6:9], s[2:3] offset:32 sc0 sc1
	s_waitcnt vmcnt(0)
	v_cmp_eq_u64_e32 vcc, v[6:7], v[8:9]
	s_or_b64 s[18:19], vcc, s[18:19]
	v_mov_b64_e32 v[8:9], v[6:7]
	s_andn2_b64 exec, exec, s[18:19]
	s_cbranch_execnz .LBB3_418
.LBB3_419:                              ;   in Loop: Header=BB3_344 Depth=1
	s_or_b64 exec, exec, s[16:17]
	global_load_dwordx2 v[6:7], v29, s[2:3] offset:16
	s_mov_b64 s[18:19], exec
	v_mbcnt_lo_u32_b32 v8, s18, 0
	v_mbcnt_hi_u32_b32 v8, s19, v8
	v_cmp_eq_u32_e32 vcc, 0, v8
	s_and_saveexec_b64 s[16:17], vcc
	s_cbranch_execz .LBB3_421
; %bb.420:                              ;   in Loop: Header=BB3_344 Depth=1
	s_bcnt1_i32_b64 s18, s[18:19]
	v_mov_b32_e32 v28, s18
	buffer_wbl2 sc0 sc1
	s_waitcnt vmcnt(0)
	global_atomic_add_x2 v[6:7], v[28:29], off offset:8 sc1
.LBB3_421:                              ;   in Loop: Header=BB3_344 Depth=1
	s_or_b64 exec, exec, s[16:17]
	s_waitcnt vmcnt(0)
	global_load_dwordx2 v[8:9], v[6:7], off offset:16
	s_waitcnt vmcnt(0)
	v_cmp_eq_u64_e32 vcc, 0, v[8:9]
	s_cbranch_vccnz .LBB3_423
; %bb.422:                              ;   in Loop: Header=BB3_344 Depth=1
	global_load_dword v28, v[6:7], off offset:24
	s_waitcnt vmcnt(0)
	v_readfirstlane_b32 s16, v28
	s_and_b32 m0, s16, 0xffffff
	buffer_wbl2 sc0 sc1
	global_store_dwordx2 v[8:9], v[28:29], off sc0 sc1
	s_sendmsg sendmsg(MSG_INTERRUPT)
.LBB3_423:                              ;   in Loop: Header=BB3_344 Depth=1
	s_or_b64 exec, exec, s[14:15]
	v_mov_b32_e32 v27, v29
	v_lshl_add_u64 v[2:3], v[2:3], 0, v[26:27]
	s_branch .LBB3_427
.LBB3_424:                              ;   in Loop: Header=BB3_427 Depth=2
	s_or_b64 exec, exec, s[14:15]
	v_readfirstlane_b32 s14, v6
	s_cmp_eq_u32 s14, 0
	s_cbranch_scc1 .LBB3_426
; %bb.425:                              ;   in Loop: Header=BB3_427 Depth=2
	s_sleep 1
	s_cbranch_execnz .LBB3_427
	s_branch .LBB3_429
.LBB3_426:                              ;   in Loop: Header=BB3_344 Depth=1
	s_branch .LBB3_429
.LBB3_427:                              ;   Parent Loop BB3_344 Depth=1
                                        ; =>  This Inner Loop Header: Depth=2
	v_mov_b32_e32 v6, 1
	s_and_saveexec_b64 s[14:15], s[0:1]
	s_cbranch_execz .LBB3_424
; %bb.428:                              ;   in Loop: Header=BB3_427 Depth=2
	global_load_dword v6, v[30:31], off offset:20 sc0 sc1
	s_waitcnt vmcnt(0)
	buffer_inv sc0 sc1
	v_and_b32_e32 v6, 1, v6
	s_branch .LBB3_424
.LBB3_429:                              ;   in Loop: Header=BB3_344 Depth=1
	global_load_dwordx4 v[6:9], v[2:3], off
	s_and_saveexec_b64 s[14:15], s[0:1]
	s_cbranch_execz .LBB3_343
; %bb.430:                              ;   in Loop: Header=BB3_344 Depth=1
	global_load_dwordx2 v[2:3], v29, s[2:3] offset:40
	global_load_dwordx2 v[12:13], v29, s[2:3] offset:24 sc0 sc1
	global_load_dwordx2 v[8:9], v29, s[2:3]
	s_waitcnt vmcnt(2)
	v_readfirstlane_b32 s16, v2
	v_readfirstlane_b32 s17, v3
	s_add_u32 s18, s16, 1
	s_addc_u32 s19, s17, 0
	s_add_u32 s0, s18, s12
	s_addc_u32 s1, s19, s13
	s_cmp_eq_u64 s[0:1], 0
	s_cselect_b32 s1, s19, s1
	s_cselect_b32 s0, s18, s0
	s_and_b64 s[12:13], s[0:1], s[16:17]
	s_mul_i32 s13, s13, 24
	s_mul_hi_u32 s16, s12, 24
	s_mul_i32 s12, s12, 24
	s_add_i32 s13, s16, s13
	s_waitcnt vmcnt(0)
	v_lshl_add_u64 v[2:3], v[8:9], 0, s[12:13]
	v_mov_b32_e32 v10, s0
	global_store_dwordx2 v[2:3], v[12:13], off
	v_mov_b32_e32 v11, s1
	buffer_wbl2 sc0 sc1
	s_waitcnt vmcnt(0)
	global_atomic_cmpswap_x2 v[10:11], v29, v[10:13], s[2:3] offset:24 sc0 sc1
	s_waitcnt vmcnt(0)
	v_cmp_ne_u64_e32 vcc, v[10:11], v[12:13]
	s_and_b64 exec, exec, vcc
	s_cbranch_execz .LBB3_343
; %bb.431:                              ;   in Loop: Header=BB3_344 Depth=1
	s_mov_b64 s[12:13], 0
.LBB3_432:                              ;   Parent Loop BB3_344 Depth=1
                                        ; =>  This Inner Loop Header: Depth=2
	s_sleep 1
	global_store_dwordx2 v[2:3], v[10:11], off
	v_mov_b32_e32 v8, s0
	v_mov_b32_e32 v9, s1
	buffer_wbl2 sc0 sc1
	s_waitcnt vmcnt(0)
	global_atomic_cmpswap_x2 v[8:9], v29, v[8:11], s[2:3] offset:24 sc0 sc1
	s_waitcnt vmcnt(0)
	v_cmp_eq_u64_e32 vcc, v[8:9], v[10:11]
	s_or_b64 s[12:13], vcc, s[12:13]
	v_mov_b64_e32 v[10:11], v[8:9]
	s_andn2_b64 exec, exec, s[12:13]
	s_cbranch_execnz .LBB3_432
	s_branch .LBB3_343
.LBB3_433:
	s_mov_b64 s[0:1], 0
	s_branch .LBB3_435
.LBB3_434:
	s_mov_b64 s[0:1], -1
.LBB3_435:
	s_and_b64 vcc, exec, s[0:1]
	s_cbranch_vccz .LBB3_462
; %bb.436:
	v_readfirstlane_b32 s0, v32
	s_waitcnt vmcnt(0)
	v_mov_b64_e32 v[8:9], 0
	v_cmp_eq_u32_e64 s[0:1], s0, v32
	s_and_saveexec_b64 s[4:5], s[0:1]
	s_cbranch_execz .LBB3_442
; %bb.437:
	v_mov_b32_e32 v2, 0
	global_load_dwordx2 v[6:7], v2, s[2:3] offset:24 sc0 sc1
	s_waitcnt vmcnt(0)
	buffer_inv sc0 sc1
	global_load_dwordx2 v[4:5], v2, s[2:3] offset:40
	global_load_dwordx2 v[8:9], v2, s[2:3]
	s_waitcnt vmcnt(1)
	v_and_b32_e32 v3, v4, v6
	v_and_b32_e32 v4, v5, v7
	v_mul_lo_u32 v4, v4, 24
	v_mul_hi_u32 v5, v3, 24
	v_add_u32_e32 v5, v5, v4
	v_mul_lo_u32 v4, v3, 24
	s_waitcnt vmcnt(0)
	v_lshl_add_u64 v[4:5], v[8:9], 0, v[4:5]
	global_load_dwordx2 v[4:5], v[4:5], off sc0 sc1
	s_waitcnt vmcnt(0)
	global_atomic_cmpswap_x2 v[8:9], v2, v[4:7], s[2:3] offset:24 sc0 sc1
	s_waitcnt vmcnt(0)
	buffer_inv sc0 sc1
	v_cmp_ne_u64_e32 vcc, v[8:9], v[6:7]
	s_and_saveexec_b64 s[6:7], vcc
	s_cbranch_execz .LBB3_441
; %bb.438:
	s_mov_b64 s[10:11], 0
.LBB3_439:                              ; =>This Inner Loop Header: Depth=1
	s_sleep 1
	global_load_dwordx2 v[4:5], v2, s[2:3] offset:40
	global_load_dwordx2 v[10:11], v2, s[2:3]
	v_mov_b64_e32 v[6:7], v[8:9]
	s_waitcnt vmcnt(1)
	v_and_b32_e32 v4, v4, v6
	v_and_b32_e32 v3, v5, v7
	s_waitcnt vmcnt(0)
	v_mad_u64_u32 v[4:5], s[12:13], v4, 24, v[10:11]
	v_mov_b32_e32 v8, v5
	v_mad_u64_u32 v[8:9], s[12:13], v3, 24, v[8:9]
	v_mov_b32_e32 v5, v8
	global_load_dwordx2 v[4:5], v[4:5], off sc0 sc1
	s_waitcnt vmcnt(0)
	global_atomic_cmpswap_x2 v[8:9], v2, v[4:7], s[2:3] offset:24 sc0 sc1
	s_waitcnt vmcnt(0)
	buffer_inv sc0 sc1
	v_cmp_eq_u64_e32 vcc, v[8:9], v[6:7]
	s_or_b64 s[10:11], vcc, s[10:11]
	s_andn2_b64 exec, exec, s[10:11]
	s_cbranch_execnz .LBB3_439
; %bb.440:
	s_or_b64 exec, exec, s[10:11]
.LBB3_441:
	s_or_b64 exec, exec, s[6:7]
.LBB3_442:
	s_or_b64 exec, exec, s[4:5]
	v_mov_b32_e32 v2, 0
	global_load_dwordx2 v[10:11], v2, s[2:3] offset:40
	global_load_dwordx4 v[4:7], v2, s[2:3]
	v_readfirstlane_b32 s5, v9
	v_readfirstlane_b32 s4, v8
	s_mov_b64 s[6:7], exec
	s_waitcnt vmcnt(1)
	v_readfirstlane_b32 s10, v10
	v_readfirstlane_b32 s11, v11
	s_and_b64 s[10:11], s[10:11], s[4:5]
	s_mul_i32 s12, s11, 24
	s_mul_hi_u32 s13, s10, 24
	s_add_i32 s13, s13, s12
	s_mul_i32 s12, s10, 24
	s_waitcnt vmcnt(0)
	v_lshl_add_u64 v[8:9], v[4:5], 0, s[12:13]
	s_and_saveexec_b64 s[12:13], s[0:1]
	s_cbranch_execz .LBB3_444
; %bb.443:
	v_mov_b64_e32 v[10:11], s[6:7]
	v_mov_b32_e32 v12, 2
	v_mov_b32_e32 v13, 1
	global_store_dwordx4 v[8:9], v[10:13], off offset:8
.LBB3_444:
	s_or_b64 exec, exec, s[12:13]
	s_lshl_b64 s[6:7], s[10:11], 12
	v_lshl_add_u64 v[6:7], v[6:7], 0, s[6:7]
	s_movk_i32 s6, 0xff1d
	s_mov_b32 s12, 0
	v_and_or_b32 v0, v0, s6, 34
	v_mov_b32_e32 v3, v2
	v_readfirstlane_b32 s6, v6
	v_readfirstlane_b32 s7, v7
	s_mov_b32 s13, s12
	s_mov_b32 s14, s12
	;; [unrolled: 1-line block ×3, first 2 shown]
	s_nop 1
	global_store_dwordx4 v26, v[0:3], s[6:7]
	s_nop 1
	v_mov_b64_e32 v[0:1], s[12:13]
	v_mov_b64_e32 v[2:3], s[14:15]
	global_store_dwordx4 v26, v[0:3], s[6:7] offset:16
	global_store_dwordx4 v26, v[0:3], s[6:7] offset:32
	;; [unrolled: 1-line block ×3, first 2 shown]
	s_and_saveexec_b64 s[6:7], s[0:1]
	s_cbranch_execz .LBB3_452
; %bb.445:
	v_mov_b32_e32 v6, 0
	global_load_dwordx2 v[12:13], v6, s[2:3] offset:32 sc0 sc1
	global_load_dwordx2 v[0:1], v6, s[2:3] offset:40
	v_mov_b32_e32 v10, s4
	v_mov_b32_e32 v11, s5
	s_waitcnt vmcnt(0)
	v_readfirstlane_b32 s10, v0
	v_readfirstlane_b32 s11, v1
	s_and_b64 s[10:11], s[10:11], s[4:5]
	s_mul_i32 s11, s11, 24
	s_mul_hi_u32 s12, s10, 24
	s_mul_i32 s10, s10, 24
	s_add_i32 s11, s12, s11
	v_lshl_add_u64 v[4:5], v[4:5], 0, s[10:11]
	global_store_dwordx2 v[4:5], v[12:13], off
	buffer_wbl2 sc0 sc1
	s_waitcnt vmcnt(0)
	global_atomic_cmpswap_x2 v[2:3], v6, v[10:13], s[2:3] offset:32 sc0 sc1
	s_waitcnt vmcnt(0)
	v_cmp_ne_u64_e32 vcc, v[2:3], v[12:13]
	s_and_saveexec_b64 s[10:11], vcc
	s_cbranch_execz .LBB3_448
; %bb.446:
	s_mov_b64 s[12:13], 0
.LBB3_447:                              ; =>This Inner Loop Header: Depth=1
	s_sleep 1
	global_store_dwordx2 v[4:5], v[2:3], off
	v_mov_b32_e32 v0, s4
	v_mov_b32_e32 v1, s5
	buffer_wbl2 sc0 sc1
	s_waitcnt vmcnt(0)
	global_atomic_cmpswap_x2 v[0:1], v6, v[0:3], s[2:3] offset:32 sc0 sc1
	s_waitcnt vmcnt(0)
	v_cmp_eq_u64_e32 vcc, v[0:1], v[2:3]
	s_or_b64 s[12:13], vcc, s[12:13]
	v_mov_b64_e32 v[2:3], v[0:1]
	s_andn2_b64 exec, exec, s[12:13]
	s_cbranch_execnz .LBB3_447
.LBB3_448:
	s_or_b64 exec, exec, s[10:11]
	v_mov_b32_e32 v3, 0
	global_load_dwordx2 v[0:1], v3, s[2:3] offset:16
	s_mov_b64 s[10:11], exec
	v_mbcnt_lo_u32_b32 v2, s10, 0
	v_mbcnt_hi_u32_b32 v2, s11, v2
	v_cmp_eq_u32_e32 vcc, 0, v2
	s_and_saveexec_b64 s[12:13], vcc
	s_cbranch_execz .LBB3_450
; %bb.449:
	s_bcnt1_i32_b64 s10, s[10:11]
	v_mov_b32_e32 v2, s10
	buffer_wbl2 sc0 sc1
	s_waitcnt vmcnt(0)
	global_atomic_add_x2 v[0:1], v[2:3], off offset:8 sc1
.LBB3_450:
	s_or_b64 exec, exec, s[12:13]
	s_waitcnt vmcnt(0)
	global_load_dwordx2 v[2:3], v[0:1], off offset:16
	s_waitcnt vmcnt(0)
	v_cmp_eq_u64_e32 vcc, 0, v[2:3]
	s_cbranch_vccnz .LBB3_452
; %bb.451:
	global_load_dword v0, v[0:1], off offset:24
	v_mov_b32_e32 v1, 0
	s_waitcnt vmcnt(0)
	v_readfirstlane_b32 s10, v0
	s_and_b32 m0, s10, 0xffffff
	buffer_wbl2 sc0 sc1
	global_store_dwordx2 v[2:3], v[0:1], off sc0 sc1
	s_sendmsg sendmsg(MSG_INTERRUPT)
.LBB3_452:
	s_or_b64 exec, exec, s[6:7]
	s_branch .LBB3_456
.LBB3_453:                              ;   in Loop: Header=BB3_456 Depth=1
	s_or_b64 exec, exec, s[6:7]
	v_readfirstlane_b32 s6, v0
	s_cmp_eq_u32 s6, 0
	s_cbranch_scc1 .LBB3_455
; %bb.454:                              ;   in Loop: Header=BB3_456 Depth=1
	s_sleep 1
	s_cbranch_execnz .LBB3_456
	s_branch .LBB3_458
.LBB3_455:
	s_branch .LBB3_458
.LBB3_456:                              ; =>This Inner Loop Header: Depth=1
	v_mov_b32_e32 v0, 1
	s_and_saveexec_b64 s[6:7], s[0:1]
	s_cbranch_execz .LBB3_453
; %bb.457:                              ;   in Loop: Header=BB3_456 Depth=1
	global_load_dword v0, v[8:9], off offset:20 sc0 sc1
	s_waitcnt vmcnt(0)
	buffer_inv sc0 sc1
	v_and_b32_e32 v0, 1, v0
	s_branch .LBB3_453
.LBB3_458:
	s_and_saveexec_b64 s[6:7], s[0:1]
	s_cbranch_execz .LBB3_461
; %bb.459:
	v_mov_b32_e32 v6, 0
	global_load_dwordx2 v[0:1], v6, s[2:3] offset:40
	global_load_dwordx2 v[10:11], v6, s[2:3] offset:24 sc0 sc1
	global_load_dwordx2 v[2:3], v6, s[2:3]
	s_waitcnt vmcnt(2)
	v_readfirstlane_b32 s10, v0
	v_readfirstlane_b32 s11, v1
	s_add_u32 s12, s10, 1
	s_addc_u32 s13, s11, 0
	s_add_u32 s0, s12, s4
	s_addc_u32 s1, s13, s5
	s_cmp_eq_u64 s[0:1], 0
	s_cselect_b32 s1, s13, s1
	s_cselect_b32 s0, s12, s0
	s_and_b64 s[4:5], s[0:1], s[10:11]
	s_mul_i32 s5, s5, 24
	s_mul_hi_u32 s10, s4, 24
	s_mul_i32 s4, s4, 24
	s_add_i32 s5, s10, s5
	s_waitcnt vmcnt(0)
	v_lshl_add_u64 v[4:5], v[2:3], 0, s[4:5]
	v_mov_b32_e32 v8, s0
	global_store_dwordx2 v[4:5], v[10:11], off
	v_mov_b32_e32 v9, s1
	buffer_wbl2 sc0 sc1
	s_waitcnt vmcnt(0)
	global_atomic_cmpswap_x2 v[2:3], v6, v[8:11], s[2:3] offset:24 sc0 sc1
	s_mov_b64 s[4:5], 0
	s_waitcnt vmcnt(0)
	v_cmp_ne_u64_e32 vcc, v[2:3], v[10:11]
	s_and_b64 exec, exec, vcc
	s_cbranch_execz .LBB3_461
.LBB3_460:                              ; =>This Inner Loop Header: Depth=1
	s_sleep 1
	global_store_dwordx2 v[4:5], v[2:3], off
	v_mov_b32_e32 v0, s0
	v_mov_b32_e32 v1, s1
	buffer_wbl2 sc0 sc1
	s_waitcnt vmcnt(0)
	global_atomic_cmpswap_x2 v[0:1], v6, v[0:3], s[2:3] offset:24 sc0 sc1
	s_waitcnt vmcnt(0)
	v_cmp_eq_u64_e32 vcc, v[0:1], v[2:3]
	s_or_b64 s[4:5], vcc, s[4:5]
	v_mov_b64_e32 v[2:3], v[0:1]
	s_andn2_b64 exec, exec, s[4:5]
	s_cbranch_execnz .LBB3_460
.LBB3_461:
	s_or_b64 exec, exec, s[6:7]
.LBB3_462:
	s_getpc_b64 s[0:1]
	s_add_u32 s0, s0, .str.29@rel32@lo+4
	s_addc_u32 s1, s1, .str.29@rel32@hi+12
	s_getpc_b64 s[2:3]
	s_add_u32 s2, s2, .str.19@rel32@lo+4
	s_addc_u32 s3, s3, .str.19@rel32@hi+12
	s_getpc_b64 s[4:5]
	s_add_u32 s4, s4, __PRETTY_FUNCTION__._ZN7VecsMemIjLi8192EE5fetchEi@rel32@lo+4
	s_addc_u32 s5, s5, __PRETTY_FUNCTION__._ZN7VecsMemIjLi8192EE5fetchEi@rel32@hi+12
	s_getpc_b64 s[6:7]
	s_add_u32 s6, s6, __assert_fail@rel32@lo+4
	s_addc_u32 s7, s7, __assert_fail@rel32@hi+12
	s_waitcnt vmcnt(0)
	v_mov_b32_e32 v0, s0
	v_mov_b32_e32 v1, s1
	;; [unrolled: 1-line block ×7, first 2 shown]
	s_swappc_b64 s[30:31], s[6:7]
	s_or_b64 s[0:1], s[52:53], exec
.LBB3_463:
	s_or_b64 exec, exec, s[26:27]
	s_andn2_b64 s[2:3], s[52:53], exec
	s_and_b64 s[0:1], s[0:1], exec
	s_or_b64 s[26:27], s[2:3], s[0:1]
	s_orn2_b64 s[0:1], s[24:25], exec
.LBB3_464:
	s_or_b64 exec, exec, s[22:23]
	s_mov_b64 s[2:3], 0
	s_and_saveexec_b64 s[22:23], s[0:1]
	s_mov_b64 s[8:9], s[34:35]
	s_cbranch_execz .LBB3_497
; %bb.465:
	s_mov_b64 s[28:29], 0
	v_cmp_ne_u64_e32 vcc, 0, v[68:69]
	s_mov_b64 s[40:41], s[26:27]
	flat_store_dwordx2 v[74:75], v[68:69] offset:8
	s_and_saveexec_b64 s[0:1], vcc
	s_xor_b64 s[24:25], exec, s[0:1]
	s_cbranch_execz .LBB3_494
; %bb.466:
	v_mov_b32_e32 v0, 0
	v_cmp_lt_i32_e32 vcc, 0, v71
	v_lshlrev_b32_e32 v4, 1, v60
	s_and_saveexec_b64 s[0:1], vcc
	s_cbranch_execnz .LBB3_469
; %bb.467:
	s_or_b64 exec, exec, s[0:1]
	v_cmp_lt_i32_e32 vcc, 0, v67
	s_and_saveexec_b64 s[0:1], vcc
	s_cbranch_execnz .LBB3_472
.LBB3_468:
	s_or_b64 exec, exec, s[0:1]
	v_cmp_lt_i32_e32 vcc, 0, v65
	s_and_saveexec_b64 s[0:1], vcc
	s_cbranch_execnz .LBB3_475
	s_branch .LBB3_478
.LBB3_469:
	scratch_load_dwordx2 v[0:1], off, s33 offset:104
	v_lshlrev_b32_e64 v5, v4, 1
	v_mov_b64_e32 v[2:3], v[68:69]
	v_mov_b32_e32 v6, v71
.LBB3_470:                              ; =>This Inner Loop Header: Depth=1
	s_waitcnt vmcnt(0)
	flat_load_dword v7, v[0:1]
	v_add_u32_e32 v6, -1, v6
	v_cmp_eq_u32_e32 vcc, 0, v6
	v_lshl_add_u64 v[0:1], v[0:1], 0, 4
	s_or_b64 s[2:3], vcc, s[2:3]
	s_waitcnt vmcnt(0) lgkmcnt(0)
	v_or_b32_e32 v7, v7, v5
	flat_store_dword v[2:3], v7
	v_lshl_add_u64 v[2:3], v[2:3], 0, 4
	s_andn2_b64 exec, exec, s[2:3]
	s_cbranch_execnz .LBB3_470
; %bb.471:
	s_or_b64 exec, exec, s[2:3]
	v_mov_b32_e32 v0, v71
	s_or_b64 exec, exec, s[0:1]
	v_cmp_lt_i32_e32 vcc, 0, v67
	s_and_saveexec_b64 s[0:1], vcc
	s_cbranch_execz .LBB3_468
.LBB3_472:
	scratch_load_dwordx2 v[2:3], off, s33 offset:120
	v_mov_b32_e32 v1, 0
	v_lshlrev_b32_e64 v6, v4, 2
	v_lshl_add_u64 v[4:5], v[0:1], 2, v[68:69]
	v_add_u32_e32 v0, v67, v0
	s_mov_b64 s[2:3], 0
.LBB3_473:                              ; =>This Inner Loop Header: Depth=1
	s_waitcnt vmcnt(0)
	flat_load_dword v1, v[2:3]
	v_add_u32_e32 v67, -1, v67
	v_cmp_eq_u32_e32 vcc, 0, v67
	v_lshl_add_u64 v[2:3], v[2:3], 0, 4
	s_or_b64 s[2:3], vcc, s[2:3]
	s_waitcnt vmcnt(0) lgkmcnt(0)
	v_or_b32_e32 v1, v1, v6
	flat_store_dword v[4:5], v1
	v_lshl_add_u64 v[4:5], v[4:5], 0, 4
	s_andn2_b64 exec, exec, s[2:3]
	s_cbranch_execnz .LBB3_473
; %bb.474:
	s_or_b64 exec, exec, s[2:3]
	s_or_b64 exec, exec, s[0:1]
	v_cmp_lt_i32_e32 vcc, 0, v65
	s_and_saveexec_b64 s[0:1], vcc
	s_cbranch_execz .LBB3_478
.LBB3_475:
	scratch_load_dwordx2 v[2:3], off, s33 offset:136
	v_mov_b32_e32 v1, 0
	v_lshl_add_u64 v[4:5], v[0:1], 2, v[68:69]
	v_add_u32_e32 v0, v65, v0
	s_mov_b64 s[2:3], 0
.LBB3_476:                              ; =>This Inner Loop Header: Depth=1
	s_waitcnt vmcnt(0)
	flat_load_dword v1, v[2:3]
	v_add_u32_e32 v65, -1, v65
	v_cmp_eq_u32_e32 vcc, 0, v65
	v_lshl_add_u64 v[2:3], v[2:3], 0, 4
	s_or_b64 s[2:3], vcc, s[2:3]
	s_waitcnt vmcnt(0) lgkmcnt(0)
	flat_store_dword v[4:5], v1
	v_lshl_add_u64 v[4:5], v[4:5], 0, 4
	s_andn2_b64 exec, exec, s[2:3]
	s_cbranch_execnz .LBB3_476
; %bb.477:
	s_or_b64 exec, exec, s[2:3]
.LBB3_478:
	s_or_b64 exec, exec, s[0:1]
	flat_load_dword v1, v[74:75] offset:4
	s_mov_b64 s[2:3], s[26:27]
	s_waitcnt vmcnt(0) lgkmcnt(0)
	v_cmp_ne_u32_e32 vcc, v0, v1
	s_and_saveexec_b64 s[0:1], vcc
	s_xor_b64 s[28:29], exec, s[0:1]
	s_cbranch_execz .LBB3_480
; %bb.479:
	s_getpc_b64 s[0:1]
	s_add_u32 s0, s0, .str.23@rel32@lo+4
	s_addc_u32 s1, s1, .str.23@rel32@hi+12
	s_getpc_b64 s[2:3]
	s_add_u32 s2, s2, .str.16@rel32@lo+4
	s_addc_u32 s3, s3, .str.16@rel32@hi+12
	s_getpc_b64 s[4:5]
	s_add_u32 s4, s4, __PRETTY_FUNCTION__._ZN3sop13minatoIsopRecEPKjS1_iPNS_3SopEP7VecsMemIjLi8192EE@rel32@lo+4
	s_addc_u32 s5, s5, __PRETTY_FUNCTION__._ZN3sop13minatoIsopRecEPKjS1_iPNS_3SopEP7VecsMemIjLi8192EE@rel32@hi+12
	s_getpc_b64 s[6:7]
	s_add_u32 s6, s6, __assert_fail@rel32@lo+4
	s_addc_u32 s7, s7, __assert_fail@rel32@hi+12
	s_mov_b64 s[8:9], s[34:35]
	v_mov_b32_e32 v0, s0
	v_mov_b32_e32 v1, s1
	v_mov_b32_e32 v2, s2
	v_mov_b32_e32 v3, s3
	v_mov_b32_e32 v4, 0xa2
	v_mov_b32_e32 v5, s4
	v_mov_b32_e32 v6, s5
	s_swappc_b64 s[30:31], s[6:7]
	s_mov_b64 s[8:9], s[34:35]
	s_or_b64 s[2:3], s[26:27], exec
                                        ; implicit-def: $vgpr61
                                        ; implicit-def: $vgpr76_vgpr77
                                        ; implicit-def: $vgpr58_vgpr59
                                        ; implicit-def: $vgpr54_vgpr55
                                        ; implicit-def: $vgpr56_vgpr57
.LBB3_480:
	s_or_saveexec_b64 s[4:5], s[28:29]
	s_mov_b64 s[0:1], 0
	s_xor_b64 exec, exec, s[4:5]
	s_cbranch_execz .LBB3_493
; %bb.481:
	s_and_saveexec_b64 s[0:1], s[36:37]
	s_cbranch_execz .LBB3_486
; %bb.482:
	v_add_u32_e32 v0, -1, v76
	v_mov_b32_e32 v1, 0
	v_lshlrev_b64 v[2:3], 2, v[0:1]
	v_add_u32_e32 v10, 1, v76
	v_lshl_add_u64 v[0:1], v[54:55], 0, v[2:3]
	v_lshl_add_u64 v[4:5], v[42:43], 0, v[2:3]
	;; [unrolled: 1-line block ×3, first 2 shown]
	s_mov_b64 s[6:7], 0
	v_mov_b64_e32 v[8:9], v[0:1]
	v_mov_b32_e32 v11, v10
.LBB3_483:                              ; =>This Inner Loop Header: Depth=1
	flat_load_dword v12, v[6:7]
	flat_load_dword v13, v[8:9]
	v_add_u32_e32 v11, -1, v11
	v_cmp_gt_u32_e32 vcc, 2, v11
	v_lshl_add_u64 v[8:9], v[8:9], 0, -4
	v_lshl_add_u64 v[6:7], v[6:7], 0, -4
	s_or_b64 s[6:7], vcc, s[6:7]
	s_waitcnt vmcnt(0) lgkmcnt(0)
	v_or_b32_e32 v12, v13, v12
	flat_store_dword v[4:5], v12
	v_lshl_add_u64 v[4:5], v[4:5], 0, -4
	s_andn2_b64 exec, exec, s[6:7]
	s_cbranch_execnz .LBB3_483
; %bb.484:
	s_or_b64 exec, exec, s[6:7]
	v_lshl_add_u64 v[4:5], v[76:77], 2, v[2:3]
	v_lshl_add_u64 v[4:5], v[42:43], 0, v[4:5]
	;; [unrolled: 1-line block ×3, first 2 shown]
	s_mov_b64 s[6:7], 0
.LBB3_485:                              ; =>This Inner Loop Header: Depth=1
	flat_load_dword v6, v[2:3]
	flat_load_dword v7, v[0:1]
	v_add_u32_e32 v10, -1, v10
	v_cmp_gt_u32_e32 vcc, 2, v10
	v_lshl_add_u64 v[0:1], v[0:1], 0, -4
	v_lshl_add_u64 v[2:3], v[2:3], 0, -4
	s_or_b64 s[6:7], vcc, s[6:7]
	s_waitcnt vmcnt(0) lgkmcnt(0)
	v_or_b32_e32 v6, v7, v6
	flat_store_dword v[4:5], v6
	v_lshl_add_u64 v[4:5], v[4:5], 0, -4
	s_andn2_b64 exec, exec, s[6:7]
	s_cbranch_execnz .LBB3_485
.LBB3_486:
	s_or_b64 exec, exec, s[0:1]
	v_lshlrev_b32_e64 v6, v61, 2
	v_ashrrev_i32_e32 v0, 31, v6
	v_add_u32_e32 v1, v6, v0
	v_xor_b32_e32 v1, v1, v0
	v_cvt_f32_u32_e32 v2, v1
	v_sub_u32_e32 v5, 0, v1
	v_ashrrev_i32_e32 v3, 31, v62
	v_add_u32_e32 v4, v62, v3
	v_rcp_iflag_f32_e32 v2, v2
	v_xor_b32_e32 v4, v4, v3
	v_xor_b32_e32 v0, v3, v0
	s_mov_b32 s16, 1
	v_mul_f32_e32 v2, 0x4f7ffffe, v2
	v_cvt_u32_f32_e32 v2, v2
	v_mul_lo_u32 v5, v5, v2
	v_mul_hi_u32 v5, v2, v5
	v_add_u32_e32 v2, v2, v5
	v_mul_hi_u32 v2, v4, v2
	v_mul_lo_u32 v5, v2, v1
	v_sub_u32_e32 v4, v4, v5
	v_add_u32_e32 v7, 1, v2
	v_sub_u32_e32 v5, v4, v1
	v_cmp_ge_u32_e32 vcc, v4, v1
	s_nop 1
	v_cndmask_b32_e32 v4, v4, v5, vcc
	v_cndmask_b32_e32 v2, v2, v7, vcc
	v_add_u32_e32 v5, 1, v2
	v_cmp_ge_u32_e32 vcc, v4, v1
	s_nop 1
	v_cndmask_b32_e32 v1, v2, v5, vcc
	v_xor_b32_e32 v1, v1, v0
	v_sub_u32_e32 v7, v1, v0
	v_cmp_lt_i32_e32 vcc, 1, v7
	s_and_saveexec_b64 s[6:7], vcc
	s_cbranch_execz .LBB3_492
; %bb.487:
	v_cmp_lt_i32_e32 vcc, 0, v6
	s_mov_b64 s[10:11], 0
	v_mov_b32_e32 v1, 0
	v_mov_b32_e32 v0, v6
	s_branch .LBB3_489
.LBB3_488:                              ;   in Loop: Header=BB3_489 Depth=1
	s_or_b64 exec, exec, s[12:13]
	s_add_i32 s16, s16, 1
	v_cmp_eq_u32_e64 s[0:1], s16, v7
	s_or_b64 s[10:11], s[0:1], s[10:11]
	v_add_u32_e32 v0, v0, v6
	s_andn2_b64 exec, exec, s[10:11]
	s_cbranch_execz .LBB3_492
.LBB3_489:                              ; =>This Loop Header: Depth=1
                                        ;     Child Loop BB3_491 Depth 2
	s_and_saveexec_b64 s[12:13], vcc
	s_cbranch_execz .LBB3_488
; %bb.490:                              ;   in Loop: Header=BB3_489 Depth=1
	v_lshlrev_b64 v[2:3], 2, v[0:1]
	s_mov_b64 s[14:15], 0
	v_mov_b64_e32 v[4:5], v[42:43]
	v_mov_b32_e32 v8, v6
.LBB3_491:                              ;   Parent Loop BB3_489 Depth=1
                                        ; =>  This Inner Loop Header: Depth=2
	flat_load_dword v9, v[4:5]
	v_add_u32_e32 v8, -1, v8
	v_cmp_eq_u32_e64 s[0:1], 0, v8
	v_lshl_add_u64 v[10:11], v[4:5], 0, v[2:3]
	v_lshl_add_u64 v[4:5], v[4:5], 0, 4
	s_or_b64 s[14:15], s[0:1], s[14:15]
	s_waitcnt vmcnt(0) lgkmcnt(0)
	flat_store_dword v[10:11], v9
	s_andn2_b64 exec, exec, s[14:15]
	s_cbranch_execnz .LBB3_491
	s_branch .LBB3_488
.LBB3_492:
	s_or_b64 exec, exec, s[6:7]
	s_mov_b64 s[0:1], exec
.LBB3_493:
	s_or_b64 exec, exec, s[4:5]
	s_andn2_b64 s[4:5], s[26:27], exec
	s_and_b64 s[2:3], s[2:3], exec
	s_or_b64 s[40:41], s[4:5], s[2:3]
	s_and_b64 s[28:29], s[0:1], exec
.LBB3_494:
	s_andn2_saveexec_b64 s[24:25], s[24:25]
	s_cbranch_execz .LBB3_496
; %bb.495:
	s_getpc_b64 s[0:1]
	s_add_u32 s0, s0, .str.20@rel32@lo+4
	s_addc_u32 s1, s1, .str.20@rel32@hi+12
	s_getpc_b64 s[2:3]
	s_add_u32 s2, s2, .str.16@rel32@lo+4
	s_addc_u32 s3, s3, .str.16@rel32@hi+12
	s_getpc_b64 s[4:5]
	s_add_u32 s4, s4, __PRETTY_FUNCTION__._ZN3sop13minatoIsopRecEPKjS1_iPNS_3SopEP7VecsMemIjLi8192EE@rel32@lo+4
	s_addc_u32 s5, s5, __PRETTY_FUNCTION__._ZN3sop13minatoIsopRecEPKjS1_iPNS_3SopEP7VecsMemIjLi8192EE@rel32@hi+12
	s_getpc_b64 s[6:7]
	s_add_u32 s6, s6, __assert_fail@rel32@lo+4
	s_addc_u32 s7, s7, __assert_fail@rel32@hi+12
	s_mov_b64 s[8:9], s[34:35]
	v_mov_b32_e32 v0, s0
	v_mov_b32_e32 v1, s1
	;; [unrolled: 1-line block ×7, first 2 shown]
	s_swappc_b64 s[30:31], s[6:7]
	s_mov_b64 s[8:9], s[34:35]
	s_or_b64 s[40:41], s[40:41], exec
.LBB3_496:
	s_or_b64 exec, exec, s[24:25]
	s_andn2_b64 s[0:1], s[26:27], exec
	s_and_b64 s[2:3], s[40:41], exec
	s_or_b64 s[26:27], s[0:1], s[2:3]
	s_and_b64 s[2:3], s[28:29], exec
.LBB3_497:
	s_or_b64 exec, exec, s[22:23]
	s_andn2_b64 s[0:1], s[52:53], exec
	s_and_b64 s[4:5], s[26:27], exec
	s_or_b64 s[96:97], s[0:1], s[4:5]
	s_and_b64 s[84:85], s[2:3], exec
                                        ; implicit-def: $vgpr46_vgpr47
                                        ; implicit-def: $vgpr44_vgpr45
                                        ; implicit-def: $vgpr74
                                        ; implicit-def: $vgpr53
.LBB3_498:
	s_andn2_saveexec_b64 s[82:83], s[38:39]
	s_cbranch_execz .LBB3_507
; %bb.499:
	flat_load_dword v0, v[46:47]
	flat_load_dword v1, v[44:45]
	v_writelane_b32 v89, s50, 6
	s_getpc_b64 s[0:1]
	s_add_u32 s0, s0, _ZN3sop14minatoIsop5RecEjjiPNS_3SopEP7VecsMemIjLi8192EE@rel32@lo+4
	s_addc_u32 s1, s1, _ZN3sop14minatoIsop5RecEjjiPNS_3SopEP7VecsMemIjLi8192EE@rel32@hi+12
	v_mov_b32_e32 v2, v53
	v_mov_b32_e32 v3, v74
	;; [unrolled: 1-line block ×5, first 2 shown]
	v_writelane_b32 v89, s51, 7
	s_mov_b64 s[98:99], s[8:9]
	s_swappc_b64 s[30:31], s[0:1]
	s_and_saveexec_b64 s[0:1], s[86:87]
	s_cbranch_execz .LBB3_506
; %bb.500:
	v_cmp_ne_u32_e32 vcc, 1, v62
	s_and_saveexec_b64 s[2:3], vcc
	s_xor_b64 s[2:3], exec, s[2:3]
	s_cbranch_execz .LBB3_504
; %bb.501:
	v_and_b32_e32 v4, 0x7ffffffe, v62
	v_mov_b32_e32 v1, v0
	s_mov_b64 s[4:5], 0
	v_mov_b64_e32 v[2:3], v[42:43]
.LBB3_502:                              ; =>This Inner Loop Header: Depth=1
	v_add_u32_e32 v4, -2, v4
	v_cmp_eq_u32_e32 vcc, 0, v4
	flat_store_dwordx2 v[2:3], v[0:1]
	s_or_b64 s[4:5], vcc, s[4:5]
	v_lshl_add_u64 v[2:3], v[2:3], 0, 8
	s_andn2_b64 exec, exec, s[4:5]
	s_cbranch_execnz .LBB3_502
; %bb.503:
	s_or_b64 exec, exec, s[4:5]
                                        ; implicit-def: $vgpr0
.LBB3_504:
	s_andn2_saveexec_b64 s[2:3], s[2:3]
	s_cbranch_execz .LBB3_506
; %bb.505:
	flat_store_dword v[42:43], v0
.LBB3_506:
	s_or_b64 exec, exec, s[0:1]
	v_readlane_b32 s50, v89, 6
	s_or_b64 s[84:85], s[84:85], exec
	s_mov_b64 s[8:9], s[98:99]
	v_readlane_b32 s51, v89, 7
.LBB3_507:
	s_or_b64 exec, exec, s[82:83]
	v_readlane_b32 s0, v89, 2
	v_readlane_b32 s1, v89, 3
	s_andn2_b64 s[0:1], s[0:1], exec
	s_and_b64 s[2:3], s[96:97], exec
	s_or_b64 s[96:97], s[0:1], s[2:3]
	s_and_b64 s[0:1], s[84:85], exec
.LBB3_508:
	v_readlane_b32 s2, v89, 4
	v_readlane_b32 s3, v89, 5
	s_or_b64 exec, exec, s[2:3]
	s_andn2_b64 s[2:3], s[68:69], exec
	s_and_b64 s[4:5], s[96:97], exec
	s_or_b64 s[26:27], s[2:3], s[4:5]
	s_and_b64 s[24:25], s[0:1], exec
                                        ; implicit-def: $vgpr74_vgpr75
                                        ; implicit-def: $vgpr72_vgpr73
                                        ; implicit-def: $vgpr62
.LBB3_509:
	v_readlane_b32 s0, v89, 0
	v_readlane_b32 s1, v89, 1
	s_andn2_saveexec_b64 s[28:29], s[0:1]
	s_cbranch_execz .LBB3_662
; %bb.510:
	v_mov_b32_e32 v0, 0
	v_mov_b32_e32 v1, 1
	flat_store_dwordx2 v[74:75], v[0:1]
	flat_load_dword v2, v[72:73]
	s_movk_i32 s0, 0x2000
	s_mov_b64 s[40:41], s[24:25]
	s_waitcnt vmcnt(0) lgkmcnt(0)
	v_cmp_gt_i32_e32 vcc, s0, v2
	s_and_saveexec_b64 s[0:1], vcc
	s_xor_b64 s[0:1], exec, s[0:1]
	s_cbranch_execz .LBB3_520
; %bb.511:
	v_ashrrev_i32_e32 v3, 31, v2
	v_add_u32_e32 v1, 1, v2
	v_lshl_add_u64 v[2:3], v[2:3], 2, v[72:73]
	v_lshl_add_u64 v[4:5], v[2:3], 0, 4
	v_cmp_lt_i32_e32 vcc, 0, v62
	flat_store_dword v[72:73], v1
	flat_store_dwordx2 v[74:75], v[4:5] offset:8
	flat_store_dword v[2:3], v0 offset:4
	s_and_saveexec_b64 s[2:3], vcc
	s_cbranch_execz .LBB3_519
; %bb.512:
	v_cmp_ne_u32_e32 vcc, 1, v62
	s_and_saveexec_b64 s[4:5], vcc
	s_xor_b64 s[4:5], exec, s[4:5]
	s_cbranch_execz .LBB3_516
; %bb.513:
	v_mov_b32_e32 v2, -1
	v_and_b32_e32 v4, 0x7ffffffe, v62
	v_add_u32_e32 v0, -1, v62
	s_mov_b64 s[6:7], 0
	v_mov_b32_e32 v1, 0
	v_mov_b32_e32 v3, v2
.LBB3_514:                              ; =>This Inner Loop Header: Depth=1
	v_lshl_add_u64 v[6:7], v[0:1], 2, v[42:43]
	v_add_co_u32_e32 v6, vcc, -4, v6
	v_add_u32_e32 v4, -2, v4
	s_nop 0
	v_addc_co_u32_e32 v7, vcc, -1, v7, vcc
	v_cmp_eq_u32_e32 vcc, 0, v4
	v_add_u32_e32 v0, -2, v0
	s_or_b64 s[6:7], vcc, s[6:7]
	flat_store_dwordx2 v[6:7], v[2:3]
	s_andn2_b64 exec, exec, s[6:7]
	s_cbranch_execnz .LBB3_514
; %bb.515:
	s_or_b64 exec, exec, s[6:7]
.LBB3_516:
	s_andn2_saveexec_b64 s[4:5], s[4:5]
	s_cbranch_execz .LBB3_519
; %bb.517:
	s_mov_b32 s4, -4
	s_mov_b32 s6, 2
	v_mov_b32_e32 v2, -1
	s_mov_b32 s5, 3
	v_mov_b64_e32 v[0:1], v[42:43]
.LBB3_518:                              ; =>This Inner Loop Header: Depth=1
	s_add_i32 s6, s6, -1
	flat_store_dword v[0:1], v2
	s_cmp_lt_u32 s6, 2
	v_lshl_add_u64 v[0:1], v[0:1], 0, s[4:5]
	s_cbranch_scc0 .LBB3_518
.LBB3_519:
	s_or_b64 exec, exec, s[2:3]
	s_or_b64 s[40:41], s[24:25], exec
.LBB3_520:
	s_or_saveexec_b64 s[42:43], s[0:1]
	s_mov_b64 s[0:1], s[26:27]
	s_xor_b64 exec, exec, s[42:43]
	s_cbranch_execz .LBB3_661
; %bb.521:
	s_load_dwordx2 s[2:3], s[8:9], 0x50
	v_mbcnt_lo_u32_b32 v0, -1, 0
	v_mbcnt_hi_u32_b32 v32, -1, v0
	v_mov_b64_e32 v[4:5], 0
	v_readfirstlane_b32 s0, v32
	s_nop 1
	v_cmp_eq_u32_e64 s[0:1], s0, v32
	s_and_saveexec_b64 s[4:5], s[0:1]
	s_cbranch_execz .LBB3_527
; %bb.522:
	v_mov_b32_e32 v0, 0
	s_waitcnt lgkmcnt(0)
	global_load_dwordx2 v[6:7], v0, s[2:3] offset:24 sc0 sc1
	s_waitcnt vmcnt(0)
	buffer_inv sc0 sc1
	global_load_dwordx2 v[2:3], v0, s[2:3] offset:40
	global_load_dwordx2 v[4:5], v0, s[2:3]
	s_waitcnt vmcnt(1)
	v_and_b32_e32 v1, v2, v6
	v_and_b32_e32 v2, v3, v7
	v_mul_lo_u32 v2, v2, 24
	v_mul_hi_u32 v3, v1, 24
	v_add_u32_e32 v3, v3, v2
	v_mul_lo_u32 v2, v1, 24
	s_waitcnt vmcnt(0)
	v_lshl_add_u64 v[2:3], v[4:5], 0, v[2:3]
	global_load_dwordx2 v[4:5], v[2:3], off sc0 sc1
	s_waitcnt vmcnt(0)
	global_atomic_cmpswap_x2 v[4:5], v0, v[4:7], s[2:3] offset:24 sc0 sc1
	s_waitcnt vmcnt(0)
	buffer_inv sc0 sc1
	v_cmp_ne_u64_e32 vcc, v[4:5], v[6:7]
	s_and_saveexec_b64 s[6:7], vcc
	s_cbranch_execz .LBB3_526
; %bb.523:
	s_mov_b64 s[10:11], 0
.LBB3_524:                              ; =>This Inner Loop Header: Depth=1
	s_sleep 1
	global_load_dwordx2 v[2:3], v0, s[2:3] offset:40
	global_load_dwordx2 v[8:9], v0, s[2:3]
	v_mov_b64_e32 v[6:7], v[4:5]
	s_waitcnt vmcnt(1)
	v_and_b32_e32 v2, v2, v6
	v_and_b32_e32 v1, v3, v7
	s_waitcnt vmcnt(0)
	v_mad_u64_u32 v[2:3], s[12:13], v2, 24, v[8:9]
	v_mov_b32_e32 v4, v3
	v_mad_u64_u32 v[4:5], s[12:13], v1, 24, v[4:5]
	v_mov_b32_e32 v3, v4
	global_load_dwordx2 v[4:5], v[2:3], off sc0 sc1
	s_waitcnt vmcnt(0)
	global_atomic_cmpswap_x2 v[4:5], v0, v[4:7], s[2:3] offset:24 sc0 sc1
	s_waitcnt vmcnt(0)
	buffer_inv sc0 sc1
	v_cmp_eq_u64_e32 vcc, v[4:5], v[6:7]
	s_or_b64 s[10:11], vcc, s[10:11]
	s_andn2_b64 exec, exec, s[10:11]
	s_cbranch_execnz .LBB3_524
; %bb.525:
	s_or_b64 exec, exec, s[10:11]
.LBB3_526:
	s_or_b64 exec, exec, s[6:7]
.LBB3_527:
	s_or_b64 exec, exec, s[4:5]
	v_mov_b32_e32 v27, 0
	s_waitcnt lgkmcnt(0)
	global_load_dwordx2 v[6:7], v27, s[2:3] offset:40
	global_load_dwordx4 v[0:3], v27, s[2:3]
	v_readfirstlane_b32 s5, v5
	v_readfirstlane_b32 s4, v4
	s_mov_b64 s[6:7], exec
	s_waitcnt vmcnt(0)
	v_readfirstlane_b32 s10, v6
	v_readfirstlane_b32 s11, v7
	s_and_b64 s[10:11], s[10:11], s[4:5]
	s_mul_i32 s12, s11, 24
	s_mul_hi_u32 s13, s10, 24
	s_add_i32 s13, s13, s12
	s_mul_i32 s12, s10, 24
	v_lshl_add_u64 v[4:5], v[0:1], 0, s[12:13]
	s_and_saveexec_b64 s[12:13], s[0:1]
	s_cbranch_execz .LBB3_529
; %bb.528:
	v_mov_b64_e32 v[6:7], s[6:7]
	v_mov_b32_e32 v8, 2
	v_mov_b32_e32 v9, 1
	global_store_dwordx4 v[4:5], v[6:9], off offset:8
.LBB3_529:
	s_or_b64 exec, exec, s[12:13]
	s_lshl_b64 s[6:7], s[10:11], 12
	v_lshl_add_u64 v[6:7], v[2:3], 0, s[6:7]
	s_mov_b32 s12, 0
	v_lshlrev_b32_e32 v26, 6, v32
	v_mov_b32_e32 v8, 33
	v_mov_b32_e32 v9, v27
	;; [unrolled: 1-line block ×4, first 2 shown]
	v_readfirstlane_b32 s6, v6
	v_readfirstlane_b32 s7, v7
	s_mov_b32 s13, s12
	s_mov_b32 s14, s12
	s_mov_b32 s15, s12
	s_nop 1
	global_store_dwordx4 v26, v[8:11], s[6:7]
	s_nop 1
	v_mov_b64_e32 v[8:9], s[12:13]
	v_mov_b64_e32 v[10:11], s[14:15]
	global_store_dwordx4 v26, v[8:11], s[6:7] offset:16
	global_store_dwordx4 v26, v[8:11], s[6:7] offset:32
	;; [unrolled: 1-line block ×3, first 2 shown]
	s_and_saveexec_b64 s[6:7], s[0:1]
	s_cbranch_execz .LBB3_537
; %bb.530:
	v_mov_b32_e32 v10, 0
	global_load_dwordx2 v[14:15], v10, s[2:3] offset:32 sc0 sc1
	global_load_dwordx2 v[2:3], v10, s[2:3] offset:40
	v_mov_b32_e32 v12, s4
	v_mov_b32_e32 v13, s5
	s_waitcnt vmcnt(0)
	v_and_b32_e32 v2, s4, v2
	v_and_b32_e32 v3, s5, v3
	v_mul_lo_u32 v3, v3, 24
	v_mul_hi_u32 v8, v2, 24
	v_mul_lo_u32 v2, v2, 24
	v_add_u32_e32 v3, v8, v3
	v_lshl_add_u64 v[8:9], v[0:1], 0, v[2:3]
	global_store_dwordx2 v[8:9], v[14:15], off
	buffer_wbl2 sc0 sc1
	s_waitcnt vmcnt(0)
	global_atomic_cmpswap_x2 v[2:3], v10, v[12:15], s[2:3] offset:32 sc0 sc1
	s_waitcnt vmcnt(0)
	v_cmp_ne_u64_e32 vcc, v[2:3], v[14:15]
	s_and_saveexec_b64 s[10:11], vcc
	s_cbranch_execz .LBB3_533
; %bb.531:
	s_mov_b64 s[12:13], 0
.LBB3_532:                              ; =>This Inner Loop Header: Depth=1
	s_sleep 1
	global_store_dwordx2 v[8:9], v[2:3], off
	v_mov_b32_e32 v0, s4
	v_mov_b32_e32 v1, s5
	buffer_wbl2 sc0 sc1
	s_waitcnt vmcnt(0)
	global_atomic_cmpswap_x2 v[0:1], v10, v[0:3], s[2:3] offset:32 sc0 sc1
	s_waitcnt vmcnt(0)
	v_cmp_eq_u64_e32 vcc, v[0:1], v[2:3]
	s_or_b64 s[12:13], vcc, s[12:13]
	v_mov_b64_e32 v[2:3], v[0:1]
	s_andn2_b64 exec, exec, s[12:13]
	s_cbranch_execnz .LBB3_532
.LBB3_533:
	s_or_b64 exec, exec, s[10:11]
	v_mov_b32_e32 v3, 0
	global_load_dwordx2 v[0:1], v3, s[2:3] offset:16
	s_mov_b64 s[10:11], exec
	v_mbcnt_lo_u32_b32 v2, s10, 0
	v_mbcnt_hi_u32_b32 v2, s11, v2
	v_cmp_eq_u32_e32 vcc, 0, v2
	s_and_saveexec_b64 s[12:13], vcc
	s_cbranch_execz .LBB3_535
; %bb.534:
	s_bcnt1_i32_b64 s10, s[10:11]
	v_mov_b32_e32 v2, s10
	buffer_wbl2 sc0 sc1
	s_waitcnt vmcnt(0)
	global_atomic_add_x2 v[0:1], v[2:3], off offset:8 sc1
.LBB3_535:
	s_or_b64 exec, exec, s[12:13]
	s_waitcnt vmcnt(0)
	global_load_dwordx2 v[2:3], v[0:1], off offset:16
	s_waitcnt vmcnt(0)
	v_cmp_eq_u64_e32 vcc, 0, v[2:3]
	s_cbranch_vccnz .LBB3_537
; %bb.536:
	global_load_dword v0, v[0:1], off offset:24
	v_mov_b32_e32 v1, 0
	s_waitcnt vmcnt(0)
	v_readfirstlane_b32 s10, v0
	s_and_b32 m0, s10, 0xffffff
	buffer_wbl2 sc0 sc1
	global_store_dwordx2 v[2:3], v[0:1], off sc0 sc1
	s_sendmsg sendmsg(MSG_INTERRUPT)
.LBB3_537:
	s_or_b64 exec, exec, s[6:7]
	v_lshl_add_u64 v[0:1], v[6:7], 0, v[26:27]
	s_branch .LBB3_541
.LBB3_538:                              ;   in Loop: Header=BB3_541 Depth=1
	s_or_b64 exec, exec, s[6:7]
	v_readfirstlane_b32 s6, v2
	s_cmp_eq_u32 s6, 0
	s_cbranch_scc1 .LBB3_540
; %bb.539:                              ;   in Loop: Header=BB3_541 Depth=1
	s_sleep 1
	s_cbranch_execnz .LBB3_541
	s_branch .LBB3_543
.LBB3_540:
	s_branch .LBB3_543
.LBB3_541:                              ; =>This Inner Loop Header: Depth=1
	v_mov_b32_e32 v2, 1
	s_and_saveexec_b64 s[6:7], s[0:1]
	s_cbranch_execz .LBB3_538
; %bb.542:                              ;   in Loop: Header=BB3_541 Depth=1
	global_load_dword v2, v[4:5], off offset:20 sc0 sc1
	s_waitcnt vmcnt(0)
	buffer_inv sc0 sc1
	v_and_b32_e32 v2, 1, v2
	s_branch .LBB3_538
.LBB3_543:
	global_load_dwordx2 v[0:1], v[0:1], off
	s_and_saveexec_b64 s[6:7], s[0:1]
	s_cbranch_execz .LBB3_546
; %bb.544:
	v_mov_b32_e32 v8, 0
	global_load_dwordx2 v[2:3], v8, s[2:3] offset:40
	global_load_dwordx2 v[12:13], v8, s[2:3] offset:24 sc0 sc1
	global_load_dwordx2 v[4:5], v8, s[2:3]
	s_waitcnt vmcnt(2)
	v_readfirstlane_b32 s10, v2
	v_readfirstlane_b32 s11, v3
	s_add_u32 s12, s10, 1
	s_addc_u32 s13, s11, 0
	s_add_u32 s0, s12, s4
	s_addc_u32 s1, s13, s5
	s_cmp_eq_u64 s[0:1], 0
	s_cselect_b32 s1, s13, s1
	s_cselect_b32 s0, s12, s0
	s_and_b64 s[4:5], s[0:1], s[10:11]
	s_mul_i32 s5, s5, 24
	s_mul_hi_u32 s10, s4, 24
	s_mul_i32 s4, s4, 24
	s_add_i32 s5, s10, s5
	s_waitcnt vmcnt(0)
	v_lshl_add_u64 v[6:7], v[4:5], 0, s[4:5]
	v_mov_b32_e32 v10, s0
	global_store_dwordx2 v[6:7], v[12:13], off
	v_mov_b32_e32 v11, s1
	buffer_wbl2 sc0 sc1
	s_waitcnt vmcnt(0)
	global_atomic_cmpswap_x2 v[4:5], v8, v[10:13], s[2:3] offset:24 sc0 sc1
	s_mov_b64 s[4:5], 0
	s_waitcnt vmcnt(0)
	v_cmp_ne_u64_e32 vcc, v[4:5], v[12:13]
	s_and_b64 exec, exec, vcc
	s_cbranch_execz .LBB3_546
.LBB3_545:                              ; =>This Inner Loop Header: Depth=1
	s_sleep 1
	global_store_dwordx2 v[6:7], v[4:5], off
	v_mov_b32_e32 v2, s0
	v_mov_b32_e32 v3, s1
	buffer_wbl2 sc0 sc1
	s_waitcnt vmcnt(0)
	global_atomic_cmpswap_x2 v[2:3], v8, v[2:5], s[2:3] offset:24 sc0 sc1
	s_waitcnt vmcnt(0)
	v_cmp_eq_u64_e32 vcc, v[2:3], v[4:5]
	s_or_b64 s[4:5], vcc, s[4:5]
	v_mov_b64_e32 v[4:5], v[2:3]
	s_andn2_b64 exec, exec, s[4:5]
	s_cbranch_execnz .LBB3_545
.LBB3_546:
	s_or_b64 exec, exec, s[6:7]
	s_getpc_b64 s[4:5]
	s_add_u32 s4, s4, .str.28@rel32@lo+4
	s_addc_u32 s5, s5, .str.28@rel32@hi+12
	s_cmp_lg_u64 s[4:5], 0
	s_cbranch_scc0 .LBB3_632
; %bb.547:
	s_waitcnt vmcnt(0)
	v_and_b32_e32 v6, -3, v0
	v_mov_b32_e32 v7, v1
	s_mov_b64 s[6:7], 35
	v_mov_b32_e32 v29, 0
	v_mov_b32_e32 v4, 2
	;; [unrolled: 1-line block ×3, first 2 shown]
	s_branch .LBB3_549
.LBB3_548:                              ;   in Loop: Header=BB3_549 Depth=1
	s_or_b64 exec, exec, s[14:15]
	s_sub_u32 s6, s6, s10
	s_subb_u32 s7, s7, s11
	s_add_u32 s4, s4, s10
	s_addc_u32 s5, s5, s11
	s_cmp_lg_u64 s[6:7], 0
	s_cbranch_scc0 .LBB3_631
.LBB3_549:                              ; =>This Loop Header: Depth=1
                                        ;     Child Loop BB3_552 Depth 2
                                        ;     Child Loop BB3_560 Depth 2
	;; [unrolled: 1-line block ×11, first 2 shown]
	v_cmp_lt_u64_e64 s[0:1], s[6:7], 56
	s_and_b64 s[0:1], s[0:1], exec
	s_cselect_b32 s11, s7, 0
	s_cselect_b32 s10, s6, 56
	v_cmp_gt_u64_e64 s[12:13], s[6:7], 7
	s_add_u32 s0, s4, 8
	s_addc_u32 s1, s5, 0
	s_and_b64 vcc, exec, s[12:13]
	s_cbranch_vccnz .LBB3_553
; %bb.550:                              ;   in Loop: Header=BB3_549 Depth=1
	s_cmp_eq_u64 s[6:7], 0
	s_cbranch_scc1 .LBB3_554
; %bb.551:                              ;   in Loop: Header=BB3_549 Depth=1
	s_lshl_b64 s[0:1], s[10:11], 3
	s_mov_b64 s[12:13], 0
	s_waitcnt vmcnt(0)
	v_mov_b64_e32 v[8:9], 0
	s_mov_b64 s[14:15], s[4:5]
.LBB3_552:                              ;   Parent Loop BB3_549 Depth=1
                                        ; =>  This Inner Loop Header: Depth=2
	global_load_ubyte v2, v29, s[14:15]
	s_waitcnt vmcnt(0)
	v_and_b32_e32 v28, 0xffff, v2
	v_lshlrev_b64 v[2:3], s12, v[28:29]
	s_add_u32 s12, s12, 8
	s_addc_u32 s13, s13, 0
	s_add_u32 s14, s14, 1
	s_addc_u32 s15, s15, 0
	v_or_b32_e32 v8, v2, v8
	s_cmp_lg_u32 s0, s12
	v_or_b32_e32 v9, v3, v9
	s_cbranch_scc1 .LBB3_552
	s_branch .LBB3_555
.LBB3_553:                              ;   in Loop: Header=BB3_549 Depth=1
	s_mov_b32 s16, 0
	s_branch .LBB3_556
.LBB3_554:                              ;   in Loop: Header=BB3_549 Depth=1
	s_waitcnt vmcnt(0)
	v_mov_b64_e32 v[8:9], 0
.LBB3_555:                              ;   in Loop: Header=BB3_549 Depth=1
	s_mov_b64 s[0:1], s[4:5]
	s_mov_b32 s16, 0
	s_cbranch_execnz .LBB3_557
.LBB3_556:                              ;   in Loop: Header=BB3_549 Depth=1
	global_load_dwordx2 v[8:9], v29, s[4:5]
	s_add_i32 s16, s10, -8
.LBB3_557:                              ;   in Loop: Header=BB3_549 Depth=1
	s_add_u32 s12, s0, 8
	s_addc_u32 s13, s1, 0
	s_cmp_gt_u32 s16, 7
	s_cbranch_scc1 .LBB3_561
; %bb.558:                              ;   in Loop: Header=BB3_549 Depth=1
	s_cmp_eq_u32 s16, 0
	s_cbranch_scc1 .LBB3_562
; %bb.559:                              ;   in Loop: Header=BB3_549 Depth=1
	s_mov_b64 s[12:13], 0
	v_mov_b64_e32 v[10:11], 0
	s_mov_b64 s[14:15], 0
.LBB3_560:                              ;   Parent Loop BB3_549 Depth=1
                                        ; =>  This Inner Loop Header: Depth=2
	s_add_u32 s18, s0, s14
	s_addc_u32 s19, s1, s15
	global_load_ubyte v2, v29, s[18:19]
	s_add_u32 s14, s14, 1
	s_addc_u32 s15, s15, 0
	s_waitcnt vmcnt(0)
	v_and_b32_e32 v28, 0xffff, v2
	v_lshlrev_b64 v[2:3], s12, v[28:29]
	s_add_u32 s12, s12, 8
	s_addc_u32 s13, s13, 0
	v_or_b32_e32 v10, v2, v10
	s_cmp_lg_u32 s16, s14
	v_or_b32_e32 v11, v3, v11
	s_cbranch_scc1 .LBB3_560
	s_branch .LBB3_563
.LBB3_561:                              ;   in Loop: Header=BB3_549 Depth=1
                                        ; implicit-def: $vgpr10_vgpr11
	s_mov_b32 s17, 0
	s_branch .LBB3_564
.LBB3_562:                              ;   in Loop: Header=BB3_549 Depth=1
	v_mov_b64_e32 v[10:11], 0
.LBB3_563:                              ;   in Loop: Header=BB3_549 Depth=1
	s_mov_b64 s[12:13], s[0:1]
	s_mov_b32 s17, 0
	s_cbranch_execnz .LBB3_565
.LBB3_564:                              ;   in Loop: Header=BB3_549 Depth=1
	global_load_dwordx2 v[10:11], v29, s[0:1]
	s_add_i32 s17, s16, -8
.LBB3_565:                              ;   in Loop: Header=BB3_549 Depth=1
	s_add_u32 s0, s12, 8
	s_addc_u32 s1, s13, 0
	s_cmp_gt_u32 s17, 7
	s_cbranch_scc1 .LBB3_569
; %bb.566:                              ;   in Loop: Header=BB3_549 Depth=1
	s_cmp_eq_u32 s17, 0
	s_cbranch_scc1 .LBB3_570
; %bb.567:                              ;   in Loop: Header=BB3_549 Depth=1
	s_mov_b64 s[0:1], 0
	v_mov_b64_e32 v[12:13], 0
	s_mov_b64 s[14:15], 0
.LBB3_568:                              ;   Parent Loop BB3_549 Depth=1
                                        ; =>  This Inner Loop Header: Depth=2
	s_add_u32 s18, s12, s14
	s_addc_u32 s19, s13, s15
	global_load_ubyte v2, v29, s[18:19]
	s_add_u32 s14, s14, 1
	s_addc_u32 s15, s15, 0
	s_waitcnt vmcnt(0)
	v_and_b32_e32 v28, 0xffff, v2
	v_lshlrev_b64 v[2:3], s0, v[28:29]
	s_add_u32 s0, s0, 8
	s_addc_u32 s1, s1, 0
	v_or_b32_e32 v12, v2, v12
	s_cmp_lg_u32 s17, s14
	v_or_b32_e32 v13, v3, v13
	s_cbranch_scc1 .LBB3_568
	s_branch .LBB3_571
.LBB3_569:                              ;   in Loop: Header=BB3_549 Depth=1
	s_mov_b32 s16, 0
	s_branch .LBB3_572
.LBB3_570:                              ;   in Loop: Header=BB3_549 Depth=1
	v_mov_b64_e32 v[12:13], 0
.LBB3_571:                              ;   in Loop: Header=BB3_549 Depth=1
	s_mov_b64 s[0:1], s[12:13]
	s_mov_b32 s16, 0
	s_cbranch_execnz .LBB3_573
.LBB3_572:                              ;   in Loop: Header=BB3_549 Depth=1
	global_load_dwordx2 v[12:13], v29, s[12:13]
	s_add_i32 s16, s17, -8
.LBB3_573:                              ;   in Loop: Header=BB3_549 Depth=1
	s_add_u32 s12, s0, 8
	s_addc_u32 s13, s1, 0
	s_cmp_gt_u32 s16, 7
	s_cbranch_scc1 .LBB3_577
; %bb.574:                              ;   in Loop: Header=BB3_549 Depth=1
	s_cmp_eq_u32 s16, 0
	s_cbranch_scc1 .LBB3_578
; %bb.575:                              ;   in Loop: Header=BB3_549 Depth=1
	s_mov_b64 s[12:13], 0
	v_mov_b64_e32 v[14:15], 0
	s_mov_b64 s[14:15], 0
.LBB3_576:                              ;   Parent Loop BB3_549 Depth=1
                                        ; =>  This Inner Loop Header: Depth=2
	s_add_u32 s18, s0, s14
	s_addc_u32 s19, s1, s15
	global_load_ubyte v2, v29, s[18:19]
	s_add_u32 s14, s14, 1
	s_addc_u32 s15, s15, 0
	s_waitcnt vmcnt(0)
	v_and_b32_e32 v28, 0xffff, v2
	v_lshlrev_b64 v[2:3], s12, v[28:29]
	s_add_u32 s12, s12, 8
	s_addc_u32 s13, s13, 0
	v_or_b32_e32 v14, v2, v14
	s_cmp_lg_u32 s16, s14
	v_or_b32_e32 v15, v3, v15
	s_cbranch_scc1 .LBB3_576
	s_branch .LBB3_579
.LBB3_577:                              ;   in Loop: Header=BB3_549 Depth=1
                                        ; implicit-def: $vgpr14_vgpr15
	s_mov_b32 s17, 0
	s_branch .LBB3_580
.LBB3_578:                              ;   in Loop: Header=BB3_549 Depth=1
	v_mov_b64_e32 v[14:15], 0
.LBB3_579:                              ;   in Loop: Header=BB3_549 Depth=1
	s_mov_b64 s[12:13], s[0:1]
	s_mov_b32 s17, 0
	s_cbranch_execnz .LBB3_581
.LBB3_580:                              ;   in Loop: Header=BB3_549 Depth=1
	global_load_dwordx2 v[14:15], v29, s[0:1]
	s_add_i32 s17, s16, -8
.LBB3_581:                              ;   in Loop: Header=BB3_549 Depth=1
	s_add_u32 s0, s12, 8
	s_addc_u32 s1, s13, 0
	s_cmp_gt_u32 s17, 7
	s_cbranch_scc1 .LBB3_585
; %bb.582:                              ;   in Loop: Header=BB3_549 Depth=1
	s_cmp_eq_u32 s17, 0
	s_cbranch_scc1 .LBB3_586
; %bb.583:                              ;   in Loop: Header=BB3_549 Depth=1
	s_mov_b64 s[0:1], 0
	v_mov_b64_e32 v[16:17], 0
	s_mov_b64 s[14:15], 0
.LBB3_584:                              ;   Parent Loop BB3_549 Depth=1
                                        ; =>  This Inner Loop Header: Depth=2
	s_add_u32 s18, s12, s14
	s_addc_u32 s19, s13, s15
	global_load_ubyte v2, v29, s[18:19]
	s_add_u32 s14, s14, 1
	s_addc_u32 s15, s15, 0
	s_waitcnt vmcnt(0)
	v_and_b32_e32 v28, 0xffff, v2
	v_lshlrev_b64 v[2:3], s0, v[28:29]
	s_add_u32 s0, s0, 8
	s_addc_u32 s1, s1, 0
	v_or_b32_e32 v16, v2, v16
	s_cmp_lg_u32 s17, s14
	v_or_b32_e32 v17, v3, v17
	s_cbranch_scc1 .LBB3_584
	s_branch .LBB3_587
.LBB3_585:                              ;   in Loop: Header=BB3_549 Depth=1
	s_mov_b32 s16, 0
	s_branch .LBB3_588
.LBB3_586:                              ;   in Loop: Header=BB3_549 Depth=1
	v_mov_b64_e32 v[16:17], 0
.LBB3_587:                              ;   in Loop: Header=BB3_549 Depth=1
	s_mov_b64 s[0:1], s[12:13]
	s_mov_b32 s16, 0
	s_cbranch_execnz .LBB3_589
.LBB3_588:                              ;   in Loop: Header=BB3_549 Depth=1
	global_load_dwordx2 v[16:17], v29, s[12:13]
	s_add_i32 s16, s17, -8
.LBB3_589:                              ;   in Loop: Header=BB3_549 Depth=1
	s_add_u32 s12, s0, 8
	s_addc_u32 s13, s1, 0
	s_cmp_gt_u32 s16, 7
	s_cbranch_scc1 .LBB3_593
; %bb.590:                              ;   in Loop: Header=BB3_549 Depth=1
	s_cmp_eq_u32 s16, 0
	s_cbranch_scc1 .LBB3_594
; %bb.591:                              ;   in Loop: Header=BB3_549 Depth=1
	s_mov_b64 s[12:13], 0
	v_mov_b64_e32 v[18:19], 0
	s_mov_b64 s[14:15], 0
.LBB3_592:                              ;   Parent Loop BB3_549 Depth=1
                                        ; =>  This Inner Loop Header: Depth=2
	s_add_u32 s18, s0, s14
	s_addc_u32 s19, s1, s15
	global_load_ubyte v2, v29, s[18:19]
	s_add_u32 s14, s14, 1
	s_addc_u32 s15, s15, 0
	s_waitcnt vmcnt(0)
	v_and_b32_e32 v28, 0xffff, v2
	v_lshlrev_b64 v[2:3], s12, v[28:29]
	s_add_u32 s12, s12, 8
	s_addc_u32 s13, s13, 0
	v_or_b32_e32 v18, v2, v18
	s_cmp_lg_u32 s16, s14
	v_or_b32_e32 v19, v3, v19
	s_cbranch_scc1 .LBB3_592
	s_branch .LBB3_595
.LBB3_593:                              ;   in Loop: Header=BB3_549 Depth=1
                                        ; implicit-def: $vgpr18_vgpr19
	s_mov_b32 s17, 0
	s_branch .LBB3_596
.LBB3_594:                              ;   in Loop: Header=BB3_549 Depth=1
	v_mov_b64_e32 v[18:19], 0
.LBB3_595:                              ;   in Loop: Header=BB3_549 Depth=1
	s_mov_b64 s[12:13], s[0:1]
	s_mov_b32 s17, 0
	s_cbranch_execnz .LBB3_597
.LBB3_596:                              ;   in Loop: Header=BB3_549 Depth=1
	global_load_dwordx2 v[18:19], v29, s[0:1]
	s_add_i32 s17, s16, -8
.LBB3_597:                              ;   in Loop: Header=BB3_549 Depth=1
	s_cmp_gt_u32 s17, 7
	s_cbranch_scc1 .LBB3_601
; %bb.598:                              ;   in Loop: Header=BB3_549 Depth=1
	s_cmp_eq_u32 s17, 0
	s_cbranch_scc1 .LBB3_602
; %bb.599:                              ;   in Loop: Header=BB3_549 Depth=1
	s_mov_b64 s[0:1], 0
	v_mov_b64_e32 v[20:21], 0
	s_mov_b64 s[14:15], s[12:13]
.LBB3_600:                              ;   Parent Loop BB3_549 Depth=1
                                        ; =>  This Inner Loop Header: Depth=2
	global_load_ubyte v2, v29, s[14:15]
	s_add_i32 s17, s17, -1
	s_waitcnt vmcnt(0)
	v_and_b32_e32 v28, 0xffff, v2
	v_lshlrev_b64 v[2:3], s0, v[28:29]
	s_add_u32 s0, s0, 8
	s_addc_u32 s1, s1, 0
	s_add_u32 s14, s14, 1
	s_addc_u32 s15, s15, 0
	v_or_b32_e32 v20, v2, v20
	s_cmp_lg_u32 s17, 0
	v_or_b32_e32 v21, v3, v21
	s_cbranch_scc1 .LBB3_600
	s_branch .LBB3_603
.LBB3_601:                              ;   in Loop: Header=BB3_549 Depth=1
	s_branch .LBB3_604
.LBB3_602:                              ;   in Loop: Header=BB3_549 Depth=1
	v_mov_b64_e32 v[20:21], 0
.LBB3_603:                              ;   in Loop: Header=BB3_549 Depth=1
	s_cbranch_execnz .LBB3_605
.LBB3_604:                              ;   in Loop: Header=BB3_549 Depth=1
	global_load_dwordx2 v[20:21], v29, s[12:13]
.LBB3_605:                              ;   in Loop: Header=BB3_549 Depth=1
	v_readfirstlane_b32 s0, v32
	v_mov_b64_e32 v[2:3], 0
	s_nop 0
	v_cmp_eq_u32_e64 s[0:1], s0, v32
	s_and_saveexec_b64 s[12:13], s[0:1]
	s_cbranch_execz .LBB3_611
; %bb.606:                              ;   in Loop: Header=BB3_549 Depth=1
	global_load_dwordx2 v[24:25], v29, s[2:3] offset:24 sc0 sc1
	s_waitcnt vmcnt(0)
	buffer_inv sc0 sc1
	global_load_dwordx2 v[2:3], v29, s[2:3] offset:40
	global_load_dwordx2 v[22:23], v29, s[2:3]
	s_waitcnt vmcnt(1)
	v_and_b32_e32 v2, v2, v24
	v_and_b32_e32 v3, v3, v25
	v_mul_lo_u32 v3, v3, 24
	v_mul_hi_u32 v27, v2, 24
	v_add_u32_e32 v3, v27, v3
	v_mul_lo_u32 v2, v2, 24
	s_waitcnt vmcnt(0)
	v_lshl_add_u64 v[2:3], v[22:23], 0, v[2:3]
	global_load_dwordx2 v[22:23], v[2:3], off sc0 sc1
	s_waitcnt vmcnt(0)
	global_atomic_cmpswap_x2 v[2:3], v29, v[22:25], s[2:3] offset:24 sc0 sc1
	s_waitcnt vmcnt(0)
	buffer_inv sc0 sc1
	v_cmp_ne_u64_e32 vcc, v[2:3], v[24:25]
	s_and_saveexec_b64 s[14:15], vcc
	s_cbranch_execz .LBB3_610
; %bb.607:                              ;   in Loop: Header=BB3_549 Depth=1
	s_mov_b64 s[16:17], 0
.LBB3_608:                              ;   Parent Loop BB3_549 Depth=1
                                        ; =>  This Inner Loop Header: Depth=2
	s_sleep 1
	global_load_dwordx2 v[22:23], v29, s[2:3] offset:40
	global_load_dwordx2 v[30:31], v29, s[2:3]
	v_mov_b64_e32 v[24:25], v[2:3]
	s_waitcnt vmcnt(1)
	v_and_b32_e32 v2, v22, v24
	s_waitcnt vmcnt(0)
	v_mad_u64_u32 v[2:3], s[18:19], v2, 24, v[30:31]
	v_and_b32_e32 v23, v23, v25
	v_mov_b32_e32 v22, v3
	v_mad_u64_u32 v[22:23], s[18:19], v23, 24, v[22:23]
	v_mov_b32_e32 v3, v22
	global_load_dwordx2 v[22:23], v[2:3], off sc0 sc1
	s_waitcnt vmcnt(0)
	global_atomic_cmpswap_x2 v[2:3], v29, v[22:25], s[2:3] offset:24 sc0 sc1
	s_waitcnt vmcnt(0)
	buffer_inv sc0 sc1
	v_cmp_eq_u64_e32 vcc, v[2:3], v[24:25]
	s_or_b64 s[16:17], vcc, s[16:17]
	s_andn2_b64 exec, exec, s[16:17]
	s_cbranch_execnz .LBB3_608
; %bb.609:                              ;   in Loop: Header=BB3_549 Depth=1
	s_or_b64 exec, exec, s[16:17]
.LBB3_610:                              ;   in Loop: Header=BB3_549 Depth=1
	s_or_b64 exec, exec, s[14:15]
.LBB3_611:                              ;   in Loop: Header=BB3_549 Depth=1
	s_or_b64 exec, exec, s[12:13]
	global_load_dwordx2 v[30:31], v29, s[2:3] offset:40
	global_load_dwordx4 v[22:25], v29, s[2:3]
	v_readfirstlane_b32 s13, v3
	v_readfirstlane_b32 s12, v2
	s_mov_b64 s[14:15], exec
	s_waitcnt vmcnt(1)
	v_readfirstlane_b32 s16, v30
	v_readfirstlane_b32 s17, v31
	s_and_b64 s[16:17], s[16:17], s[12:13]
	s_mul_i32 s18, s17, 24
	s_mul_hi_u32 s19, s16, 24
	s_add_i32 s19, s19, s18
	s_mul_i32 s18, s16, 24
	s_waitcnt vmcnt(0)
	v_lshl_add_u64 v[30:31], v[22:23], 0, s[18:19]
	s_and_saveexec_b64 s[18:19], s[0:1]
	s_cbranch_execz .LBB3_613
; %bb.612:                              ;   in Loop: Header=BB3_549 Depth=1
	v_mov_b64_e32 v[2:3], s[14:15]
	global_store_dwordx4 v[30:31], v[2:5], off offset:8
.LBB3_613:                              ;   in Loop: Header=BB3_549 Depth=1
	s_or_b64 exec, exec, s[18:19]
	s_lshl_b64 s[14:15], s[16:17], 12
	v_lshl_add_u64 v[2:3], v[24:25], 0, s[14:15]
	v_cmp_gt_u64_e64 s[14:15], s[6:7], 56
	s_and_b64 s[14:15], s[14:15], exec
	s_cselect_b32 s14, 0, 2
	s_lshl_b32 s15, s10, 2
	s_add_i32 s15, s15, 28
	v_and_b32_e32 v6, 0xffffff1f, v6
	s_and_b32 s15, s15, 0x1e0
	v_or_b32_e32 v6, s14, v6
	v_or_b32_e32 v6, s15, v6
	v_readfirstlane_b32 s14, v2
	v_readfirstlane_b32 s15, v3
	s_nop 4
	global_store_dwordx4 v26, v[6:9], s[14:15]
	global_store_dwordx4 v26, v[10:13], s[14:15] offset:16
	global_store_dwordx4 v26, v[14:17], s[14:15] offset:32
	;; [unrolled: 1-line block ×3, first 2 shown]
	s_and_saveexec_b64 s[14:15], s[0:1]
	s_cbranch_execz .LBB3_621
; %bb.614:                              ;   in Loop: Header=BB3_549 Depth=1
	global_load_dwordx2 v[14:15], v29, s[2:3] offset:32 sc0 sc1
	global_load_dwordx2 v[6:7], v29, s[2:3] offset:40
	v_mov_b32_e32 v12, s12
	v_mov_b32_e32 v13, s13
	s_waitcnt vmcnt(0)
	v_readfirstlane_b32 s16, v6
	v_readfirstlane_b32 s17, v7
	s_and_b64 s[16:17], s[16:17], s[12:13]
	s_mul_i32 s17, s17, 24
	s_mul_hi_u32 s18, s16, 24
	s_mul_i32 s16, s16, 24
	s_add_i32 s17, s18, s17
	v_lshl_add_u64 v[10:11], v[22:23], 0, s[16:17]
	global_store_dwordx2 v[10:11], v[14:15], off
	buffer_wbl2 sc0 sc1
	s_waitcnt vmcnt(0)
	global_atomic_cmpswap_x2 v[8:9], v29, v[12:15], s[2:3] offset:32 sc0 sc1
	s_waitcnt vmcnt(0)
	v_cmp_ne_u64_e32 vcc, v[8:9], v[14:15]
	s_and_saveexec_b64 s[16:17], vcc
	s_cbranch_execz .LBB3_617
; %bb.615:                              ;   in Loop: Header=BB3_549 Depth=1
	s_mov_b64 s[18:19], 0
.LBB3_616:                              ;   Parent Loop BB3_549 Depth=1
                                        ; =>  This Inner Loop Header: Depth=2
	s_sleep 1
	global_store_dwordx2 v[10:11], v[8:9], off
	v_mov_b32_e32 v6, s12
	v_mov_b32_e32 v7, s13
	buffer_wbl2 sc0 sc1
	s_waitcnt vmcnt(0)
	global_atomic_cmpswap_x2 v[6:7], v29, v[6:9], s[2:3] offset:32 sc0 sc1
	s_waitcnt vmcnt(0)
	v_cmp_eq_u64_e32 vcc, v[6:7], v[8:9]
	s_or_b64 s[18:19], vcc, s[18:19]
	v_mov_b64_e32 v[8:9], v[6:7]
	s_andn2_b64 exec, exec, s[18:19]
	s_cbranch_execnz .LBB3_616
.LBB3_617:                              ;   in Loop: Header=BB3_549 Depth=1
	s_or_b64 exec, exec, s[16:17]
	global_load_dwordx2 v[6:7], v29, s[2:3] offset:16
	s_mov_b64 s[18:19], exec
	v_mbcnt_lo_u32_b32 v8, s18, 0
	v_mbcnt_hi_u32_b32 v8, s19, v8
	v_cmp_eq_u32_e32 vcc, 0, v8
	s_and_saveexec_b64 s[16:17], vcc
	s_cbranch_execz .LBB3_619
; %bb.618:                              ;   in Loop: Header=BB3_549 Depth=1
	s_bcnt1_i32_b64 s18, s[18:19]
	v_mov_b32_e32 v28, s18
	buffer_wbl2 sc0 sc1
	s_waitcnt vmcnt(0)
	global_atomic_add_x2 v[6:7], v[28:29], off offset:8 sc1
.LBB3_619:                              ;   in Loop: Header=BB3_549 Depth=1
	s_or_b64 exec, exec, s[16:17]
	s_waitcnt vmcnt(0)
	global_load_dwordx2 v[8:9], v[6:7], off offset:16
	s_waitcnt vmcnt(0)
	v_cmp_eq_u64_e32 vcc, 0, v[8:9]
	s_cbranch_vccnz .LBB3_621
; %bb.620:                              ;   in Loop: Header=BB3_549 Depth=1
	global_load_dword v28, v[6:7], off offset:24
	s_waitcnt vmcnt(0)
	v_readfirstlane_b32 s16, v28
	s_and_b32 m0, s16, 0xffffff
	buffer_wbl2 sc0 sc1
	global_store_dwordx2 v[8:9], v[28:29], off sc0 sc1
	s_sendmsg sendmsg(MSG_INTERRUPT)
.LBB3_621:                              ;   in Loop: Header=BB3_549 Depth=1
	s_or_b64 exec, exec, s[14:15]
	v_mov_b32_e32 v27, v29
	v_lshl_add_u64 v[2:3], v[2:3], 0, v[26:27]
	s_branch .LBB3_625
.LBB3_622:                              ;   in Loop: Header=BB3_625 Depth=2
	s_or_b64 exec, exec, s[14:15]
	v_readfirstlane_b32 s14, v6
	s_cmp_eq_u32 s14, 0
	s_cbranch_scc1 .LBB3_624
; %bb.623:                              ;   in Loop: Header=BB3_625 Depth=2
	s_sleep 1
	s_cbranch_execnz .LBB3_625
	s_branch .LBB3_627
.LBB3_624:                              ;   in Loop: Header=BB3_549 Depth=1
	s_branch .LBB3_627
.LBB3_625:                              ;   Parent Loop BB3_549 Depth=1
                                        ; =>  This Inner Loop Header: Depth=2
	v_mov_b32_e32 v6, 1
	s_and_saveexec_b64 s[14:15], s[0:1]
	s_cbranch_execz .LBB3_622
; %bb.626:                              ;   in Loop: Header=BB3_625 Depth=2
	global_load_dword v6, v[30:31], off offset:20 sc0 sc1
	s_waitcnt vmcnt(0)
	buffer_inv sc0 sc1
	v_and_b32_e32 v6, 1, v6
	s_branch .LBB3_622
.LBB3_627:                              ;   in Loop: Header=BB3_549 Depth=1
	global_load_dwordx4 v[6:9], v[2:3], off
	s_and_saveexec_b64 s[14:15], s[0:1]
	s_cbranch_execz .LBB3_548
; %bb.628:                              ;   in Loop: Header=BB3_549 Depth=1
	global_load_dwordx2 v[2:3], v29, s[2:3] offset:40
	global_load_dwordx2 v[12:13], v29, s[2:3] offset:24 sc0 sc1
	global_load_dwordx2 v[8:9], v29, s[2:3]
	s_waitcnt vmcnt(2)
	v_readfirstlane_b32 s16, v2
	v_readfirstlane_b32 s17, v3
	s_add_u32 s18, s16, 1
	s_addc_u32 s19, s17, 0
	s_add_u32 s0, s18, s12
	s_addc_u32 s1, s19, s13
	s_cmp_eq_u64 s[0:1], 0
	s_cselect_b32 s1, s19, s1
	s_cselect_b32 s0, s18, s0
	s_and_b64 s[12:13], s[0:1], s[16:17]
	s_mul_i32 s13, s13, 24
	s_mul_hi_u32 s16, s12, 24
	s_mul_i32 s12, s12, 24
	s_add_i32 s13, s16, s13
	s_waitcnt vmcnt(0)
	v_lshl_add_u64 v[2:3], v[8:9], 0, s[12:13]
	v_mov_b32_e32 v10, s0
	global_store_dwordx2 v[2:3], v[12:13], off
	v_mov_b32_e32 v11, s1
	buffer_wbl2 sc0 sc1
	s_waitcnt vmcnt(0)
	global_atomic_cmpswap_x2 v[10:11], v29, v[10:13], s[2:3] offset:24 sc0 sc1
	s_waitcnt vmcnt(0)
	v_cmp_ne_u64_e32 vcc, v[10:11], v[12:13]
	s_and_b64 exec, exec, vcc
	s_cbranch_execz .LBB3_548
; %bb.629:                              ;   in Loop: Header=BB3_549 Depth=1
	s_mov_b64 s[12:13], 0
.LBB3_630:                              ;   Parent Loop BB3_549 Depth=1
                                        ; =>  This Inner Loop Header: Depth=2
	s_sleep 1
	global_store_dwordx2 v[2:3], v[10:11], off
	v_mov_b32_e32 v8, s0
	v_mov_b32_e32 v9, s1
	buffer_wbl2 sc0 sc1
	s_waitcnt vmcnt(0)
	global_atomic_cmpswap_x2 v[8:9], v29, v[8:11], s[2:3] offset:24 sc0 sc1
	s_waitcnt vmcnt(0)
	v_cmp_eq_u64_e32 vcc, v[8:9], v[10:11]
	s_or_b64 s[12:13], vcc, s[12:13]
	v_mov_b64_e32 v[10:11], v[8:9]
	s_andn2_b64 exec, exec, s[12:13]
	s_cbranch_execnz .LBB3_630
	s_branch .LBB3_548
.LBB3_631:
	s_mov_b64 s[0:1], 0
	s_branch .LBB3_633
.LBB3_632:
	s_mov_b64 s[0:1], -1
.LBB3_633:
	s_and_b64 vcc, exec, s[0:1]
	s_cbranch_vccz .LBB3_660
; %bb.634:
	v_readfirstlane_b32 s0, v32
	s_waitcnt vmcnt(0)
	v_mov_b64_e32 v[8:9], 0
	v_cmp_eq_u32_e64 s[0:1], s0, v32
	s_and_saveexec_b64 s[4:5], s[0:1]
	s_cbranch_execz .LBB3_640
; %bb.635:
	v_mov_b32_e32 v2, 0
	global_load_dwordx2 v[6:7], v2, s[2:3] offset:24 sc0 sc1
	s_waitcnt vmcnt(0)
	buffer_inv sc0 sc1
	global_load_dwordx2 v[4:5], v2, s[2:3] offset:40
	global_load_dwordx2 v[8:9], v2, s[2:3]
	s_waitcnt vmcnt(1)
	v_and_b32_e32 v3, v4, v6
	v_and_b32_e32 v4, v5, v7
	v_mul_lo_u32 v4, v4, 24
	v_mul_hi_u32 v5, v3, 24
	v_add_u32_e32 v5, v5, v4
	v_mul_lo_u32 v4, v3, 24
	s_waitcnt vmcnt(0)
	v_lshl_add_u64 v[4:5], v[8:9], 0, v[4:5]
	global_load_dwordx2 v[4:5], v[4:5], off sc0 sc1
	s_waitcnt vmcnt(0)
	global_atomic_cmpswap_x2 v[8:9], v2, v[4:7], s[2:3] offset:24 sc0 sc1
	s_waitcnt vmcnt(0)
	buffer_inv sc0 sc1
	v_cmp_ne_u64_e32 vcc, v[8:9], v[6:7]
	s_and_saveexec_b64 s[6:7], vcc
	s_cbranch_execz .LBB3_639
; %bb.636:
	s_mov_b64 s[10:11], 0
.LBB3_637:                              ; =>This Inner Loop Header: Depth=1
	s_sleep 1
	global_load_dwordx2 v[4:5], v2, s[2:3] offset:40
	global_load_dwordx2 v[10:11], v2, s[2:3]
	v_mov_b64_e32 v[6:7], v[8:9]
	s_waitcnt vmcnt(1)
	v_and_b32_e32 v4, v4, v6
	v_and_b32_e32 v3, v5, v7
	s_waitcnt vmcnt(0)
	v_mad_u64_u32 v[4:5], s[12:13], v4, 24, v[10:11]
	v_mov_b32_e32 v8, v5
	v_mad_u64_u32 v[8:9], s[12:13], v3, 24, v[8:9]
	v_mov_b32_e32 v5, v8
	global_load_dwordx2 v[4:5], v[4:5], off sc0 sc1
	s_waitcnt vmcnt(0)
	global_atomic_cmpswap_x2 v[8:9], v2, v[4:7], s[2:3] offset:24 sc0 sc1
	s_waitcnt vmcnt(0)
	buffer_inv sc0 sc1
	v_cmp_eq_u64_e32 vcc, v[8:9], v[6:7]
	s_or_b64 s[10:11], vcc, s[10:11]
	s_andn2_b64 exec, exec, s[10:11]
	s_cbranch_execnz .LBB3_637
; %bb.638:
	s_or_b64 exec, exec, s[10:11]
.LBB3_639:
	s_or_b64 exec, exec, s[6:7]
.LBB3_640:
	s_or_b64 exec, exec, s[4:5]
	v_mov_b32_e32 v2, 0
	global_load_dwordx2 v[10:11], v2, s[2:3] offset:40
	global_load_dwordx4 v[4:7], v2, s[2:3]
	v_readfirstlane_b32 s5, v9
	v_readfirstlane_b32 s4, v8
	s_mov_b64 s[6:7], exec
	s_waitcnt vmcnt(1)
	v_readfirstlane_b32 s10, v10
	v_readfirstlane_b32 s11, v11
	s_and_b64 s[10:11], s[10:11], s[4:5]
	s_mul_i32 s12, s11, 24
	s_mul_hi_u32 s13, s10, 24
	s_add_i32 s13, s13, s12
	s_mul_i32 s12, s10, 24
	s_waitcnt vmcnt(0)
	v_lshl_add_u64 v[8:9], v[4:5], 0, s[12:13]
	s_and_saveexec_b64 s[12:13], s[0:1]
	s_cbranch_execz .LBB3_642
; %bb.641:
	v_mov_b64_e32 v[10:11], s[6:7]
	v_mov_b32_e32 v12, 2
	v_mov_b32_e32 v13, 1
	global_store_dwordx4 v[8:9], v[10:13], off offset:8
.LBB3_642:
	s_or_b64 exec, exec, s[12:13]
	s_lshl_b64 s[6:7], s[10:11], 12
	v_lshl_add_u64 v[6:7], v[6:7], 0, s[6:7]
	s_movk_i32 s6, 0xff1d
	s_mov_b32 s12, 0
	v_and_or_b32 v0, v0, s6, 34
	v_mov_b32_e32 v3, v2
	v_readfirstlane_b32 s6, v6
	v_readfirstlane_b32 s7, v7
	s_mov_b32 s13, s12
	s_mov_b32 s14, s12
	;; [unrolled: 1-line block ×3, first 2 shown]
	s_nop 1
	global_store_dwordx4 v26, v[0:3], s[6:7]
	s_nop 1
	v_mov_b64_e32 v[0:1], s[12:13]
	v_mov_b64_e32 v[2:3], s[14:15]
	global_store_dwordx4 v26, v[0:3], s[6:7] offset:16
	global_store_dwordx4 v26, v[0:3], s[6:7] offset:32
	;; [unrolled: 1-line block ×3, first 2 shown]
	s_and_saveexec_b64 s[6:7], s[0:1]
	s_cbranch_execz .LBB3_650
; %bb.643:
	v_mov_b32_e32 v6, 0
	global_load_dwordx2 v[12:13], v6, s[2:3] offset:32 sc0 sc1
	global_load_dwordx2 v[0:1], v6, s[2:3] offset:40
	v_mov_b32_e32 v10, s4
	v_mov_b32_e32 v11, s5
	s_waitcnt vmcnt(0)
	v_readfirstlane_b32 s10, v0
	v_readfirstlane_b32 s11, v1
	s_and_b64 s[10:11], s[10:11], s[4:5]
	s_mul_i32 s11, s11, 24
	s_mul_hi_u32 s12, s10, 24
	s_mul_i32 s10, s10, 24
	s_add_i32 s11, s12, s11
	v_lshl_add_u64 v[4:5], v[4:5], 0, s[10:11]
	global_store_dwordx2 v[4:5], v[12:13], off
	buffer_wbl2 sc0 sc1
	s_waitcnt vmcnt(0)
	global_atomic_cmpswap_x2 v[2:3], v6, v[10:13], s[2:3] offset:32 sc0 sc1
	s_waitcnt vmcnt(0)
	v_cmp_ne_u64_e32 vcc, v[2:3], v[12:13]
	s_and_saveexec_b64 s[10:11], vcc
	s_cbranch_execz .LBB3_646
; %bb.644:
	s_mov_b64 s[12:13], 0
.LBB3_645:                              ; =>This Inner Loop Header: Depth=1
	s_sleep 1
	global_store_dwordx2 v[4:5], v[2:3], off
	v_mov_b32_e32 v0, s4
	v_mov_b32_e32 v1, s5
	buffer_wbl2 sc0 sc1
	s_waitcnt vmcnt(0)
	global_atomic_cmpswap_x2 v[0:1], v6, v[0:3], s[2:3] offset:32 sc0 sc1
	s_waitcnt vmcnt(0)
	v_cmp_eq_u64_e32 vcc, v[0:1], v[2:3]
	s_or_b64 s[12:13], vcc, s[12:13]
	v_mov_b64_e32 v[2:3], v[0:1]
	s_andn2_b64 exec, exec, s[12:13]
	s_cbranch_execnz .LBB3_645
.LBB3_646:
	s_or_b64 exec, exec, s[10:11]
	v_mov_b32_e32 v3, 0
	global_load_dwordx2 v[0:1], v3, s[2:3] offset:16
	s_mov_b64 s[10:11], exec
	v_mbcnt_lo_u32_b32 v2, s10, 0
	v_mbcnt_hi_u32_b32 v2, s11, v2
	v_cmp_eq_u32_e32 vcc, 0, v2
	s_and_saveexec_b64 s[12:13], vcc
	s_cbranch_execz .LBB3_648
; %bb.647:
	s_bcnt1_i32_b64 s10, s[10:11]
	v_mov_b32_e32 v2, s10
	buffer_wbl2 sc0 sc1
	s_waitcnt vmcnt(0)
	global_atomic_add_x2 v[0:1], v[2:3], off offset:8 sc1
.LBB3_648:
	s_or_b64 exec, exec, s[12:13]
	s_waitcnt vmcnt(0)
	global_load_dwordx2 v[2:3], v[0:1], off offset:16
	s_waitcnt vmcnt(0)
	v_cmp_eq_u64_e32 vcc, 0, v[2:3]
	s_cbranch_vccnz .LBB3_650
; %bb.649:
	global_load_dword v0, v[0:1], off offset:24
	v_mov_b32_e32 v1, 0
	s_waitcnt vmcnt(0)
	v_readfirstlane_b32 s10, v0
	s_and_b32 m0, s10, 0xffffff
	buffer_wbl2 sc0 sc1
	global_store_dwordx2 v[2:3], v[0:1], off sc0 sc1
	s_sendmsg sendmsg(MSG_INTERRUPT)
.LBB3_650:
	s_or_b64 exec, exec, s[6:7]
	s_branch .LBB3_654
.LBB3_651:                              ;   in Loop: Header=BB3_654 Depth=1
	s_or_b64 exec, exec, s[6:7]
	v_readfirstlane_b32 s6, v0
	s_cmp_eq_u32 s6, 0
	s_cbranch_scc1 .LBB3_653
; %bb.652:                              ;   in Loop: Header=BB3_654 Depth=1
	s_sleep 1
	s_cbranch_execnz .LBB3_654
	s_branch .LBB3_656
.LBB3_653:
	s_branch .LBB3_656
.LBB3_654:                              ; =>This Inner Loop Header: Depth=1
	v_mov_b32_e32 v0, 1
	s_and_saveexec_b64 s[6:7], s[0:1]
	s_cbranch_execz .LBB3_651
; %bb.655:                              ;   in Loop: Header=BB3_654 Depth=1
	global_load_dword v0, v[8:9], off offset:20 sc0 sc1
	s_waitcnt vmcnt(0)
	buffer_inv sc0 sc1
	v_and_b32_e32 v0, 1, v0
	s_branch .LBB3_651
.LBB3_656:
	s_and_saveexec_b64 s[6:7], s[0:1]
	s_cbranch_execz .LBB3_659
; %bb.657:
	v_mov_b32_e32 v6, 0
	global_load_dwordx2 v[0:1], v6, s[2:3] offset:40
	global_load_dwordx2 v[10:11], v6, s[2:3] offset:24 sc0 sc1
	global_load_dwordx2 v[2:3], v6, s[2:3]
	s_waitcnt vmcnt(2)
	v_readfirstlane_b32 s10, v0
	v_readfirstlane_b32 s11, v1
	s_add_u32 s12, s10, 1
	s_addc_u32 s13, s11, 0
	s_add_u32 s0, s12, s4
	s_addc_u32 s1, s13, s5
	s_cmp_eq_u64 s[0:1], 0
	s_cselect_b32 s1, s13, s1
	s_cselect_b32 s0, s12, s0
	s_and_b64 s[4:5], s[0:1], s[10:11]
	s_mul_i32 s5, s5, 24
	s_mul_hi_u32 s10, s4, 24
	s_mul_i32 s4, s4, 24
	s_add_i32 s5, s10, s5
	s_waitcnt vmcnt(0)
	v_lshl_add_u64 v[4:5], v[2:3], 0, s[4:5]
	v_mov_b32_e32 v8, s0
	global_store_dwordx2 v[4:5], v[10:11], off
	v_mov_b32_e32 v9, s1
	buffer_wbl2 sc0 sc1
	s_waitcnt vmcnt(0)
	global_atomic_cmpswap_x2 v[2:3], v6, v[8:11], s[2:3] offset:24 sc0 sc1
	s_mov_b64 s[4:5], 0
	s_waitcnt vmcnt(0)
	v_cmp_ne_u64_e32 vcc, v[2:3], v[10:11]
	s_and_b64 exec, exec, vcc
	s_cbranch_execz .LBB3_659
.LBB3_658:                              ; =>This Inner Loop Header: Depth=1
	s_sleep 1
	global_store_dwordx2 v[4:5], v[2:3], off
	v_mov_b32_e32 v0, s0
	v_mov_b32_e32 v1, s1
	buffer_wbl2 sc0 sc1
	s_waitcnt vmcnt(0)
	global_atomic_cmpswap_x2 v[0:1], v6, v[0:3], s[2:3] offset:24 sc0 sc1
	s_waitcnt vmcnt(0)
	v_cmp_eq_u64_e32 vcc, v[0:1], v[2:3]
	s_or_b64 s[4:5], vcc, s[4:5]
	v_mov_b64_e32 v[2:3], v[0:1]
	s_andn2_b64 exec, exec, s[4:5]
	s_cbranch_execnz .LBB3_658
.LBB3_659:
	s_or_b64 exec, exec, s[6:7]
.LBB3_660:
	s_getpc_b64 s[0:1]
	s_add_u32 s0, s0, .str.29@rel32@lo+4
	s_addc_u32 s1, s1, .str.29@rel32@hi+12
	s_getpc_b64 s[2:3]
	s_add_u32 s2, s2, .str.19@rel32@lo+4
	s_addc_u32 s3, s3, .str.19@rel32@hi+12
	s_getpc_b64 s[4:5]
	s_add_u32 s4, s4, __PRETTY_FUNCTION__._ZN7VecsMemIjLi8192EE5fetchEi@rel32@lo+4
	s_addc_u32 s5, s5, __PRETTY_FUNCTION__._ZN7VecsMemIjLi8192EE5fetchEi@rel32@hi+12
	s_getpc_b64 s[6:7]
	s_add_u32 s6, s6, __assert_fail@rel32@lo+4
	s_addc_u32 s7, s7, __assert_fail@rel32@hi+12
	s_waitcnt vmcnt(0)
	v_mov_b32_e32 v0, s0
	v_mov_b32_e32 v1, s1
	v_mov_b32_e32 v2, s2
	v_mov_b32_e32 v3, s3
	v_mov_b32_e32 v4, 12
	v_mov_b32_e32 v5, s4
	v_mov_b32_e32 v6, s5
	s_mov_b64 s[22:23], s[8:9]
	s_swappc_b64 s[30:31], s[6:7]
	s_mov_b64 s[8:9], s[22:23]
	s_or_b64 s[0:1], s[26:27], exec
.LBB3_661:
	s_or_b64 exec, exec, s[42:43]
	s_andn2_b64 s[2:3], s[26:27], exec
	s_and_b64 s[0:1], s[0:1], exec
	s_or_b64 s[26:27], s[2:3], s[0:1]
	s_andn2_b64 s[0:1], s[24:25], exec
	s_and_b64 s[2:3], s[40:41], exec
	s_or_b64 s[24:25], s[0:1], s[2:3]
.LBB3_662:
	s_or_b64 exec, exec, s[28:29]
	s_andn2_b64 s[0:1], s[68:69], exec
	s_and_b64 s[2:3], s[26:27], exec
	s_or_b64 s[0:1], s[0:1], s[2:3]
	s_and_b64 s[2:3], s[24:25], exec
                                        ; implicit-def: $vgpr74_vgpr75
                                        ; implicit-def: $vgpr62
.LBB3_663:
	s_andn2_saveexec_b64 s[4:5], s[80:81]
	s_cbranch_execz .LBB3_673
; %bb.664:
	v_mov_b32_e32 v0, 0
	v_mov_b32_e32 v1, v0
	;; [unrolled: 1-line block ×4, first 2 shown]
	v_cmp_lt_i32_e32 vcc, 0, v62
	flat_store_dwordx4 v[74:75], v[0:3]
	s_and_saveexec_b64 s[6:7], vcc
	s_cbranch_execz .LBB3_672
; %bb.665:
	v_cmp_ne_u32_e32 vcc, 1, v62
	s_and_saveexec_b64 s[10:11], vcc
	s_xor_b64 s[10:11], exec, s[10:11]
	s_cbranch_execz .LBB3_669
; %bb.666:
	v_mov_b32_e32 v1, 0
	v_and_b32_e32 v2, 0x7ffffffe, v62
	v_add_u32_e32 v0, -1, v62
	s_mov_b64 s[12:13], 0
	v_mov_b32_e32 v4, v1
	v_mov_b32_e32 v5, v1
.LBB3_667:                              ; =>This Inner Loop Header: Depth=1
	v_lshl_add_u64 v[6:7], v[0:1], 2, v[42:43]
	v_add_co_u32_e32 v6, vcc, -4, v6
	v_add_u32_e32 v2, -2, v2
	s_nop 0
	v_addc_co_u32_e32 v7, vcc, -1, v7, vcc
	v_cmp_eq_u32_e32 vcc, 0, v2
	v_add_u32_e32 v0, -2, v0
	s_or_b64 s[12:13], vcc, s[12:13]
	flat_store_dwordx2 v[6:7], v[4:5]
	s_andn2_b64 exec, exec, s[12:13]
	s_cbranch_execnz .LBB3_667
; %bb.668:
	s_or_b64 exec, exec, s[12:13]
.LBB3_669:
	s_andn2_saveexec_b64 s[10:11], s[10:11]
	s_cbranch_execz .LBB3_672
; %bb.670:
	s_mov_b32 s10, -4
	s_mov_b32 s12, 2
	v_mov_b32_e32 v2, 0
	s_mov_b32 s11, 3
	v_mov_b64_e32 v[0:1], v[42:43]
.LBB3_671:                              ; =>This Inner Loop Header: Depth=1
	s_add_i32 s12, s12, -1
	flat_store_dword v[0:1], v2
	s_cmp_lt_u32 s12, 2
	v_lshl_add_u64 v[0:1], v[0:1], 0, s[10:11]
	s_cbranch_scc0 .LBB3_671
.LBB3_672:
	s_or_b64 exec, exec, s[6:7]
	s_or_b64 s[2:3], s[2:3], exec
.LBB3_673:
	s_or_b64 exec, exec, s[4:5]
	s_and_saveexec_b64 s[4:5], s[2:3]
	s_xor_b64 s[2:3], exec, s[4:5]
	s_or_b64 exec, exec, s[2:3]
	s_andn2_b64 s[2:3], s[68:69], exec
	s_and_b64 s[0:1], s[0:1], exec
	s_or_b64 s[22:23], s[2:3], s[0:1]
.LBB3_674:
	s_andn2_saveexec_b64 s[24:25], s[50:51]
	s_cbranch_execz .LBB3_676
; %bb.675:
	s_getpc_b64 s[0:1]
	s_add_u32 s0, s0, .str.17@rel32@lo+4
	s_addc_u32 s1, s1, .str.17@rel32@hi+12
	s_getpc_b64 s[2:3]
	s_add_u32 s2, s2, .str.16@rel32@lo+4
	s_addc_u32 s3, s3, .str.16@rel32@hi+12
	s_getpc_b64 s[4:5]
	s_add_u32 s4, s4, __PRETTY_FUNCTION__._ZN3sop13minatoIsopRecEPKjS1_iPNS_3SopEP7VecsMemIjLi8192EE@rel32@lo+4
	s_addc_u32 s5, s5, __PRETTY_FUNCTION__._ZN3sop13minatoIsopRecEPKjS1_iPNS_3SopEP7VecsMemIjLi8192EE@rel32@hi+12
	s_getpc_b64 s[6:7]
	s_add_u32 s6, s6, __assert_fail@rel32@lo+4
	s_addc_u32 s7, s7, __assert_fail@rel32@hi+12
	v_mov_b32_e32 v0, s0
	v_mov_b32_e32 v1, s1
	;; [unrolled: 1-line block ×7, first 2 shown]
	s_swappc_b64 s[30:31], s[6:7]
	s_or_b64 s[22:23], s[22:23], exec
.LBB3_676:
	s_or_b64 exec, exec, s[24:25]
	s_andn2_b64 s[0:1], s[68:69], exec
	s_and_b64 s[2:3], s[22:23], exec
	s_or_b64 s[68:69], s[0:1], s[2:3]
	s_or_b64 exec, exec, s[70:71]
	s_and_saveexec_b64 s[0:1], s[68:69]
	s_cbranch_execnz .LBB3_3
	s_branch .LBB3_4
.Lfunc_end3:
	.size	_ZN3sop13minatoIsopRecEPKjS1_iPNS_3SopEP7VecsMemIjLi8192EE, .Lfunc_end3-_ZN3sop13minatoIsopRecEPKjS1_iPNS_3SopEP7VecsMemIjLi8192EE
                                        ; -- End function
	.set .L_ZN3sop13minatoIsopRecEPKjS1_iPNS_3SopEP7VecsMemIjLi8192EE.num_vgpr, max(90, .L__assert_fail.num_vgpr, .L_ZN3sop14minatoIsop5RecEjjiPNS_3SopEP7VecsMemIjLi8192EE.num_vgpr)
	.set .L_ZN3sop13minatoIsopRecEPKjS1_iPNS_3SopEP7VecsMemIjLi8192EE.num_agpr, max(0, .L__assert_fail.num_agpr, .L_ZN3sop14minatoIsop5RecEjjiPNS_3SopEP7VecsMemIjLi8192EE.num_agpr)
	.set .L_ZN3sop13minatoIsopRecEPKjS1_iPNS_3SopEP7VecsMemIjLi8192EE.numbered_sgpr, max(100, .L__assert_fail.numbered_sgpr, .L_ZN3sop14minatoIsop5RecEjjiPNS_3SopEP7VecsMemIjLi8192EE.numbered_sgpr)
	.set .L_ZN3sop13minatoIsopRecEPKjS1_iPNS_3SopEP7VecsMemIjLi8192EE.num_named_barrier, max(0, .L__assert_fail.num_named_barrier, .L_ZN3sop14minatoIsop5RecEjjiPNS_3SopEP7VecsMemIjLi8192EE.num_named_barrier)
	.set .L_ZN3sop13minatoIsopRecEPKjS1_iPNS_3SopEP7VecsMemIjLi8192EE.private_seg_size, 160+max(.L__assert_fail.private_seg_size, .L_ZN3sop14minatoIsop5RecEjjiPNS_3SopEP7VecsMemIjLi8192EE.private_seg_size)
	.set .L_ZN3sop13minatoIsopRecEPKjS1_iPNS_3SopEP7VecsMemIjLi8192EE.uses_vcc, or(1, .L__assert_fail.uses_vcc, .L_ZN3sop14minatoIsop5RecEjjiPNS_3SopEP7VecsMemIjLi8192EE.uses_vcc)
	.set .L_ZN3sop13minatoIsopRecEPKjS1_iPNS_3SopEP7VecsMemIjLi8192EE.uses_flat_scratch, or(0, .L__assert_fail.uses_flat_scratch, .L_ZN3sop14minatoIsop5RecEjjiPNS_3SopEP7VecsMemIjLi8192EE.uses_flat_scratch)
	.set .L_ZN3sop13minatoIsopRecEPKjS1_iPNS_3SopEP7VecsMemIjLi8192EE.has_dyn_sized_stack, or(0, .L__assert_fail.has_dyn_sized_stack, .L_ZN3sop14minatoIsop5RecEjjiPNS_3SopEP7VecsMemIjLi8192EE.has_dyn_sized_stack)
	.set .L_ZN3sop13minatoIsopRecEPKjS1_iPNS_3SopEP7VecsMemIjLi8192EE.has_recursion, or(1, .L__assert_fail.has_recursion, .L_ZN3sop14minatoIsop5RecEjjiPNS_3SopEP7VecsMemIjLi8192EE.has_recursion)
	.set .L_ZN3sop13minatoIsopRecEPKjS1_iPNS_3SopEP7VecsMemIjLi8192EE.has_indirect_call, or(0, .L__assert_fail.has_indirect_call, .L_ZN3sop14minatoIsop5RecEjjiPNS_3SopEP7VecsMemIjLi8192EE.has_indirect_call)
	.section	.AMDGPU.csdata,"",@progbits
; Function info:
; codeLenInByte = 22960
; TotalNumSgprs: 106
; NumVgprs: 90
; NumAgprs: 0
; TotalNumVgprs: 90
; ScratchSize: 336
; MemoryBound: 0
	.text
	.p2align	2                               ; -- Begin function _ZN3sop23sopFactorTrivialCubeRecEjiiPN8subgUtil4SubgILi256EEE
	.type	_ZN3sop23sopFactorTrivialCubeRecEjiiPN8subgUtil4SubgILi256EEE,@function
_ZN3sop23sopFactorTrivialCubeRecEjiiPN8subgUtil4SubgILi256EEE: ; @_ZN3sop23sopFactorTrivialCubeRecEjiiPN8subgUtil4SubgILi256EEE
; %bb.0:
	s_waitcnt vmcnt(0) expcnt(0) lgkmcnt(0)
	s_mov_b32 s0, s33
	s_mov_b32 s33, s32
	s_or_saveexec_b64 s[2:3], -1
	scratch_store_dword off, v46, s33 offset:24 ; 4-byte Folded Spill
	s_mov_b64 exec, s[2:3]
	v_writelane_b32 v46, s0, 14
	s_add_i32 s32, s32, 32
	scratch_store_dword off, v40, s33 offset:20 ; 4-byte Folded Spill
	scratch_store_dword off, v41, s33 offset:16 ; 4-byte Folded Spill
	;; [unrolled: 1-line block ×5, first 2 shown]
	scratch_store_dword off, v45, s33       ; 4-byte Folded Spill
	v_writelane_b32 v46, s34, 0
	v_writelane_b32 v46, s35, 1
	v_writelane_b32 v46, s36, 2
	v_writelane_b32 v46, s37, 3
	v_writelane_b32 v46, s38, 4
	v_writelane_b32 v46, s39, 5
	v_writelane_b32 v46, s48, 6
	v_writelane_b32 v46, s49, 7
	v_writelane_b32 v46, s50, 8
	v_writelane_b32 v46, s51, 9
	v_writelane_b32 v46, s52, 10
	v_writelane_b32 v46, s53, 11
	v_writelane_b32 v46, s30, 12
	s_nop 1
	v_writelane_b32 v46, s31, 13
	v_mov_b32_e32 v45, v4
	v_mov_b32_e32 v44, v3
	v_cmp_ne_u32_e32 vcc, 0, v0
	s_mov_b64 s[22:23], 0
                                        ; implicit-def: $vgpr53
	s_and_saveexec_b64 s[0:1], vcc
	s_xor_b64 s[38:39], exec, s[0:1]
	s_cbranch_execnz .LBB4_5
; %bb.1:
	s_andn2_saveexec_b64 s[24:25], s[38:39]
	s_cbranch_execnz .LBB4_34
.LBB4_2:
	s_or_b64 exec, exec, s[24:25]
	s_and_saveexec_b64 s[0:1], s[22:23]
.LBB4_3:
	; divergent unreachable
.LBB4_4:
	s_or_b64 exec, exec, s[0:1]
	scratch_load_dword v45, off, s33        ; 4-byte Folded Reload
	scratch_load_dword v44, off, s33 offset:4 ; 4-byte Folded Reload
	scratch_load_dword v43, off, s33 offset:8 ; 4-byte Folded Reload
	;; [unrolled: 1-line block ×5, first 2 shown]
	v_readlane_b32 s30, v46, 12
	v_mov_b32_e32 v0, v53
	v_readlane_b32 s31, v46, 13
	v_readlane_b32 s53, v46, 11
	v_readlane_b32 s52, v46, 10
	v_readlane_b32 s51, v46, 9
	v_readlane_b32 s50, v46, 8
	v_readlane_b32 s49, v46, 7
	v_readlane_b32 s48, v46, 6
	v_readlane_b32 s39, v46, 5
	v_readlane_b32 s38, v46, 4
	v_readlane_b32 s37, v46, 3
	v_readlane_b32 s36, v46, 2
	v_readlane_b32 s35, v46, 1
	v_readlane_b32 s34, v46, 0
	s_mov_b32 s32, s33
	v_readlane_b32 s0, v46, 14
	s_or_saveexec_b64 s[2:3], -1
	scratch_load_dword v46, off, s33 offset:24 ; 4-byte Folded Reload
	s_mov_b64 exec, s[2:3]
	s_mov_b32 s33, s0
	s_waitcnt vmcnt(0) lgkmcnt(0)
	s_setpc_b64 s[30:31]
.LBB4_5:
	v_cmp_lt_i32_e32 vcc, v1, v2
	v_mov_b32_e32 v53, -1
	v_mov_b32_e32 v3, 0
	s_and_saveexec_b64 s[2:3], vcc
	s_cbranch_execz .LBB4_9
; %bb.6:
	v_mov_b32_e32 v53, -1
	v_mov_b32_e32 v3, 0
	s_mov_b64 s[4:5], 0
	v_mov_b32_e32 v4, v1
.LBB4_7:                                ; =>This Inner Loop Header: Depth=1
	v_lshrrev_b32_e32 v5, v4, v0
	v_and_b32_e32 v5, 1, v5
	v_cmp_eq_u32_e64 s[0:1], 1, v5
	v_bfe_u32 v6, v0, v4, 1
	v_add_u32_e32 v3, v3, v6
	v_cndmask_b32_e64 v53, v53, v4, s[0:1]
	v_add_u32_e32 v4, 1, v4
	v_cmp_ge_i32_e64 s[0:1], v4, v2
	s_or_b64 s[4:5], s[0:1], s[4:5]
	s_andn2_b64 exec, exec, s[4:5]
	s_cbranch_execnz .LBB4_7
; %bb.8:
	s_or_b64 exec, exec, s[4:5]
.LBB4_9:
	s_or_b64 exec, exec, s[2:3]
	v_cmp_ne_u32_e64 s[0:1], -1, v53
	s_mov_b64 s[24:25], 0
	s_and_saveexec_b64 s[2:3], s[0:1]
	s_xor_b64 s[48:49], exec, s[2:3]
	s_cbranch_execz .LBB4_31
; %bb.10:
	v_cmp_ne_u32_e64 s[0:1], 1, v3
	s_mov_b64 s[2:3], 0
	s_and_saveexec_b64 s[50:51], s[0:1]
	s_cbranch_execz .LBB4_30
; %bb.11:
	v_mov_b32_e32 v41, v1
	s_and_saveexec_b64 s[0:1], vcc
	s_cbranch_execz .LBB4_21
; %bb.12:
	v_lshrrev_b32_e32 v3, 1, v3
	v_mov_b32_e32 v4, 0
	v_mov_b32_e32 v5, v1
	s_branch .LBB4_14
.LBB4_13:                               ;   in Loop: Header=BB4_14 Depth=1
	s_or_b64 exec, exec, s[6:7]
	s_and_b64 s[4:5], exec, s[4:5]
	v_mov_b32_e32 v41, v5
	s_or_b64 s[2:3], s[4:5], s[2:3]
	v_mov_b32_e32 v5, v6
	s_andn2_b64 exec, exec, s[2:3]
	s_cbranch_execz .LBB4_20
.LBB4_14:                               ; =>This Inner Loop Header: Depth=1
	v_lshrrev_b32_e32 v6, v5, v0
	v_and_b32_e32 v6, 1, v6
	v_cmp_eq_u32_e32 vcc, 1, v6
	s_mov_b64 s[4:5], -1
	s_mov_b64 s[10:11], -1
	s_and_saveexec_b64 s[6:7], vcc
	s_cbranch_execz .LBB4_18
; %bb.15:                               ;   in Loop: Header=BB4_14 Depth=1
	v_cmp_ne_u32_e32 vcc, v4, v3
	s_mov_b64 s[10:11], 0
	s_and_saveexec_b64 s[12:13], vcc
; %bb.16:                               ;   in Loop: Header=BB4_14 Depth=1
	s_mov_b64 s[10:11], exec
	v_add_u32_e32 v4, 1, v4
; %bb.17:                               ;   in Loop: Header=BB4_14 Depth=1
	s_or_b64 exec, exec, s[12:13]
	s_orn2_b64 s[10:11], s[10:11], exec
.LBB4_18:                               ;   in Loop: Header=BB4_14 Depth=1
	s_or_b64 exec, exec, s[6:7]
                                        ; implicit-def: $vgpr6
	s_and_saveexec_b64 s[6:7], s[10:11]
	s_cbranch_execz .LBB4_13
; %bb.19:                               ;   in Loop: Header=BB4_14 Depth=1
	v_add_u32_e32 v6, 1, v5
	v_cmp_ge_i32_e32 vcc, v6, v2
	s_orn2_b64 s[4:5], vcc, exec
	v_mov_b32_e32 v5, v2
	s_branch .LBB4_13
.LBB4_20:
	s_or_b64 exec, exec, s[2:3]
.LBB4_21:
	s_or_b64 exec, exec, s[0:1]
	v_mov_b32_e32 v42, v2
	s_getpc_b64 s[52:53]
	s_add_u32 s52, s52, _ZN3sop23sopFactorTrivialCubeRecEjiiPN8subgUtil4SubgILi256EEE@rel32@lo+4
	s_addc_u32 s53, s53, _ZN3sop23sopFactorTrivialCubeRecEjiiPN8subgUtil4SubgILi256EEE@rel32@hi+12
	v_mov_b32_e32 v2, v41
	v_mov_b32_e32 v3, v44
	;; [unrolled: 1-line block ×3, first 2 shown]
	s_mov_b64 s[36:37], s[8:9]
	v_mov_b32_e32 v43, v0
	s_swappc_b64 s[30:31], s[52:53]
	v_mov_b32_e32 v40, v0
	s_mov_b64 s[8:9], s[36:37]
	v_mov_b32_e32 v0, v43
	v_mov_b32_e32 v1, v41
	;; [unrolled: 1-line block ×5, first 2 shown]
	s_mov_b64 s[34:35], s[36:37]
	s_swappc_b64 s[30:31], s[52:53]
	flat_load_dword v2, v[44:45]
	s_movk_i32 s0, 0xff
	s_mov_b64 s[22:23], 0
	s_waitcnt vmcnt(0) lgkmcnt(0)
	v_cmp_lt_i32_e32 vcc, s0, v2
	s_and_saveexec_b64 s[0:1], vcc
	s_xor_b64 s[24:25], exec, s[0:1]
	s_cbranch_execz .LBB4_23
; %bb.22:
	s_getpc_b64 s[0:1]
	s_add_u32 s0, s0, .str.43@rel32@lo+4
	s_addc_u32 s1, s1, .str.43@rel32@hi+12
	s_getpc_b64 s[2:3]
	s_add_u32 s2, s2, .str.44@rel32@lo+4
	s_addc_u32 s3, s3, .str.44@rel32@hi+12
	s_getpc_b64 s[4:5]
	s_add_u32 s4, s4, __PRETTY_FUNCTION__._ZN8subgUtil4SubgILi256EE10addNodeAndEii@rel32@lo+4
	s_addc_u32 s5, s5, __PRETTY_FUNCTION__._ZN8subgUtil4SubgILi256EE10addNodeAndEii@rel32@hi+12
	s_getpc_b64 s[6:7]
	s_add_u32 s6, s6, __assert_fail@rel32@lo+4
	s_addc_u32 s7, s7, __assert_fail@rel32@hi+12
	s_mov_b64 s[8:9], s[34:35]
	v_mov_b32_e32 v0, s0
	v_mov_b32_e32 v1, s1
	;; [unrolled: 1-line block ×7, first 2 shown]
	s_swappc_b64 s[30:31], s[6:7]
	s_mov_b64 s[22:23], exec
                                        ; implicit-def: $vgpr0
                                        ; implicit-def: $vgpr40
                                        ; implicit-def: $vgpr2
                                        ; implicit-def: $vgpr44_vgpr45
.LBB4_23:
	s_or_saveexec_b64 s[24:25], s[24:25]
	s_mov_b64 s[8:9], s[34:35]
                                        ; implicit-def: $vgpr53
	s_xor_b64 exec, exec, s[24:25]
	s_cbranch_execz .LBB4_29
; %bb.24:
	v_or_b32_e32 v1, v0, v40
	v_cmp_lt_i32_e32 vcc, -1, v1
                                        ; implicit-def: $vgpr53
	s_and_saveexec_b64 s[0:1], vcc
	s_xor_b64 s[0:1], exec, s[0:1]
	s_cbranch_execz .LBB4_26
; %bb.25:
	v_add_u32_e32 v3, 1, v2
	v_min_i32_e32 v1, v40, v0
	v_max_i32_e32 v0, v40, v0
	flat_store_dword v[44:45], v3
	v_ashrrev_i32_e32 v3, 31, v2
	v_lshlrev_b32_e32 v0, 1, v0
	v_lshl_add_u64 v[4:5], v[2:3], 3, v[44:45]
	flat_store_dwordx2 v[4:5], v[0:1] offset:8
	v_lshlrev_b32_e32 v53, 1, v2
.LBB4_26:
	s_or_saveexec_b64 s[26:27], s[0:1]
	s_mov_b64 s[0:1], s[22:23]
	s_xor_b64 exec, exec, s[26:27]
	s_cbranch_execz .LBB4_28
; %bb.27:
	s_getpc_b64 s[0:1]
	s_add_u32 s0, s0, .str.46@rel32@lo+4
	s_addc_u32 s1, s1, .str.46@rel32@hi+12
	s_getpc_b64 s[2:3]
	s_add_u32 s2, s2, .str.44@rel32@lo+4
	s_addc_u32 s3, s3, .str.44@rel32@hi+12
	s_getpc_b64 s[4:5]
	s_add_u32 s4, s4, __PRETTY_FUNCTION__._ZN8subgUtil18formAndNodeKeyFlagEiii@rel32@lo+4
	s_addc_u32 s5, s5, __PRETTY_FUNCTION__._ZN8subgUtil18formAndNodeKeyFlagEiii@rel32@hi+12
	s_getpc_b64 s[6:7]
	s_add_u32 s6, s6, __assert_fail@rel32@lo+4
	s_addc_u32 s7, s7, __assert_fail@rel32@hi+12
	s_mov_b64 s[8:9], s[34:35]
	v_mov_b32_e32 v0, s0
	v_mov_b32_e32 v1, s1
	;; [unrolled: 1-line block ×7, first 2 shown]
	s_swappc_b64 s[30:31], s[6:7]
	s_mov_b64 s[8:9], s[34:35]
	s_or_b64 s[0:1], s[22:23], exec
.LBB4_28:
	s_or_b64 exec, exec, s[26:27]
	s_andn2_b64 s[2:3], s[22:23], exec
	s_and_b64 s[0:1], s[0:1], exec
	s_or_b64 s[22:23], s[2:3], s[0:1]
.LBB4_29:
	s_or_b64 exec, exec, s[24:25]
	s_and_b64 s[2:3], s[22:23], exec
.LBB4_30:
	s_or_b64 exec, exec, s[50:51]
	s_and_b64 s[24:25], s[2:3], exec
.LBB4_31:
	s_andn2_saveexec_b64 s[26:27], s[48:49]
	s_cbranch_execz .LBB4_33
; %bb.32:
	s_getpc_b64 s[0:1]
	s_add_u32 s0, s0, .str.37@rel32@lo+4
	s_addc_u32 s1, s1, .str.37@rel32@hi+12
	s_getpc_b64 s[2:3]
	s_add_u32 s2, s2, .str.31@rel32@lo+4
	s_addc_u32 s3, s3, .str.31@rel32@hi+12
	s_getpc_b64 s[4:5]
	s_add_u32 s4, s4, __PRETTY_FUNCTION__._ZN3sop23sopFactorTrivialCubeRecEjiiPN8subgUtil4SubgILi256EEE@rel32@lo+4
	s_addc_u32 s5, s5, __PRETTY_FUNCTION__._ZN3sop23sopFactorTrivialCubeRecEjiiPN8subgUtil4SubgILi256EEE@rel32@hi+12
	s_getpc_b64 s[6:7]
	s_add_u32 s6, s6, __assert_fail@rel32@lo+4
	s_addc_u32 s7, s7, __assert_fail@rel32@hi+12
	v_mov_b32_e32 v0, s0
	v_mov_b32_e32 v1, s1
	;; [unrolled: 1-line block ×7, first 2 shown]
	s_mov_b64 s[22:23], s[8:9]
	s_swappc_b64 s[30:31], s[6:7]
	s_mov_b64 s[8:9], s[22:23]
	s_or_b64 s[24:25], s[24:25], exec
.LBB4_33:
	s_or_b64 exec, exec, s[26:27]
	s_and_b64 s[22:23], s[24:25], exec
	s_andn2_saveexec_b64 s[24:25], s[38:39]
	s_cbranch_execz .LBB4_2
.LBB4_34:
	s_getpc_b64 s[0:1]
	s_add_u32 s0, s0, .str.36@rel32@lo+4
	s_addc_u32 s1, s1, .str.36@rel32@hi+12
	s_getpc_b64 s[2:3]
	s_add_u32 s2, s2, .str.31@rel32@lo+4
	s_addc_u32 s3, s3, .str.31@rel32@hi+12
	s_getpc_b64 s[4:5]
	s_add_u32 s4, s4, __PRETTY_FUNCTION__._ZN3sop23sopFactorTrivialCubeRecEjiiPN8subgUtil4SubgILi256EEE@rel32@lo+4
	s_addc_u32 s5, s5, __PRETTY_FUNCTION__._ZN3sop23sopFactorTrivialCubeRecEjiiPN8subgUtil4SubgILi256EEE@rel32@hi+12
	s_getpc_b64 s[6:7]
	s_add_u32 s6, s6, __assert_fail@rel32@lo+4
	s_addc_u32 s7, s7, __assert_fail@rel32@hi+12
	v_mov_b32_e32 v0, s0
	v_mov_b32_e32 v1, s1
	;; [unrolled: 1-line block ×7, first 2 shown]
	s_swappc_b64 s[30:31], s[6:7]
	s_or_b64 s[22:23], s[22:23], exec
	s_or_b64 exec, exec, s[24:25]
	s_and_saveexec_b64 s[0:1], s[22:23]
	s_cbranch_execnz .LBB4_3
	s_branch .LBB4_4
.Lfunc_end4:
	.size	_ZN3sop23sopFactorTrivialCubeRecEjiiPN8subgUtil4SubgILi256EEE, .Lfunc_end4-_ZN3sop23sopFactorTrivialCubeRecEjiiPN8subgUtil4SubgILi256EEE
                                        ; -- End function
	.set .L_ZN3sop23sopFactorTrivialCubeRecEjiiPN8subgUtil4SubgILi256EEE.num_vgpr, max(54, .L__assert_fail.num_vgpr)
	.set .L_ZN3sop23sopFactorTrivialCubeRecEjiiPN8subgUtil4SubgILi256EEE.num_agpr, max(0, .L__assert_fail.num_agpr)
	.set .L_ZN3sop23sopFactorTrivialCubeRecEjiiPN8subgUtil4SubgILi256EEE.numbered_sgpr, max(54, .L__assert_fail.numbered_sgpr)
	.set .L_ZN3sop23sopFactorTrivialCubeRecEjiiPN8subgUtil4SubgILi256EEE.num_named_barrier, max(0, .L__assert_fail.num_named_barrier)
	.set .L_ZN3sop23sopFactorTrivialCubeRecEjiiPN8subgUtil4SubgILi256EEE.private_seg_size, 32+max(.L__assert_fail.private_seg_size)
	.set .L_ZN3sop23sopFactorTrivialCubeRecEjiiPN8subgUtil4SubgILi256EEE.uses_vcc, or(1, .L__assert_fail.uses_vcc)
	.set .L_ZN3sop23sopFactorTrivialCubeRecEjiiPN8subgUtil4SubgILi256EEE.uses_flat_scratch, or(0, .L__assert_fail.uses_flat_scratch)
	.set .L_ZN3sop23sopFactorTrivialCubeRecEjiiPN8subgUtil4SubgILi256EEE.has_dyn_sized_stack, or(0, .L__assert_fail.has_dyn_sized_stack)
	.set .L_ZN3sop23sopFactorTrivialCubeRecEjiiPN8subgUtil4SubgILi256EEE.has_recursion, or(1, .L__assert_fail.has_recursion)
	.set .L_ZN3sop23sopFactorTrivialCubeRecEjiiPN8subgUtil4SubgILi256EEE.has_indirect_call, or(0, .L__assert_fail.has_indirect_call)
	.section	.AMDGPU.csdata,"",@progbits
; Function info:
; codeLenInByte = 1540
; TotalNumSgprs: 60
; NumVgprs: 54
; NumAgprs: 0
; TotalNumVgprs: 54
; ScratchSize: 96
; MemoryBound: 0
	.text
	.p2align	2                               ; -- Begin function _ZN3sop19sopFactorTrivialRecEPjiiPN8subgUtil4SubgILi256EEE
	.type	_ZN3sop19sopFactorTrivialRecEPjiiPN8subgUtil4SubgILi256EEE,@function
_ZN3sop19sopFactorTrivialRecEPjiiPN8subgUtil4SubgILi256EEE: ; @_ZN3sop19sopFactorTrivialRecEPjiiPN8subgUtil4SubgILi256EEE
; %bb.0:
	s_waitcnt vmcnt(0) expcnt(0) lgkmcnt(0)
	s_mov_b32 s0, s33
	s_mov_b32 s33, s32
	s_or_saveexec_b64 s[2:3], -1
	scratch_store_dword off, v57, s33 offset:36 ; 4-byte Folded Spill
	s_mov_b64 exec, s[2:3]
	v_writelane_b32 v57, s0, 16
	s_add_i32 s32, s32, 48
	scratch_store_dword off, v40, s33 offset:32 ; 4-byte Folded Spill
	scratch_store_dword off, v41, s33 offset:28 ; 4-byte Folded Spill
	scratch_store_dword off, v42, s33 offset:24 ; 4-byte Folded Spill
	scratch_store_dword off, v43, s33 offset:20 ; 4-byte Folded Spill
	scratch_store_dword off, v44, s33 offset:16 ; 4-byte Folded Spill
	scratch_store_dword off, v45, s33 offset:12 ; 4-byte Folded Spill
	scratch_store_dword off, v46, s33 offset:8 ; 4-byte Folded Spill
	scratch_store_dword off, v47, s33 offset:4 ; 4-byte Folded Spill
	scratch_store_dword off, v56, s33       ; 4-byte Folded Spill
	v_writelane_b32 v57, s34, 0
	v_writelane_b32 v57, s35, 1
	;; [unrolled: 1-line block ×15, first 2 shown]
	s_nop 1
	v_writelane_b32 v57, s31, 15
	v_mov_b32_e32 v41, v5
	v_mov_b32_e32 v40, v4
	v_mov_b32_e32 v43, v1
	v_mov_b32_e32 v42, v0
	s_mov_b64 s[34:35], s[8:9]
	v_cmp_ne_u32_e32 vcc, 1, v2
                                        ; implicit-def: $vgpr53
	s_and_saveexec_b64 s[0:1], vcc
	s_xor_b64 s[36:37], exec, s[0:1]
	s_cbranch_execz .LBB5_6
; %bb.1:
	v_lshrrev_b32_e32 v0, 31, v2
	v_add_u32_e32 v0, v2, v0
	v_ashrrev_i32_e32 v46, 1, v0
	v_sub_u32_e32 v45, v2, v46
	s_getpc_b64 s[38:39]
	s_add_u32 s38, s38, _ZN3sop19sopFactorTrivialRecEPjiiPN8subgUtil4SubgILi256EEE@rel32@lo+4
	s_addc_u32 s39, s39, _ZN3sop19sopFactorTrivialRecEPjiiPN8subgUtil4SubgILi256EEE@rel32@hi+12
	s_mov_b64 s[8:9], s[34:35]
	v_mov_b32_e32 v0, v42
	v_mov_b32_e32 v1, v43
	;; [unrolled: 1-line block ×6, first 2 shown]
	s_swappc_b64 s[30:31], s[38:39]
	v_ashrrev_i32_e32 v47, 31, v46
	v_mov_b32_e32 v44, v0
	v_lshl_add_u64 v[0:1], v[46:47], 2, v[42:43]
	s_mov_b64 s[8:9], s[34:35]
	v_mov_b32_e32 v2, v45
	v_mov_b32_e32 v3, v56
	;; [unrolled: 1-line block ×4, first 2 shown]
	s_swappc_b64 s[30:31], s[38:39]
	flat_load_dword v1, v[40:41]
	s_movk_i32 s0, 0xff
	s_mov_b64 s[22:23], 0
	s_waitcnt vmcnt(0) lgkmcnt(0)
	v_cmp_lt_i32_e32 vcc, s0, v1
	s_and_saveexec_b64 s[0:1], vcc
	s_xor_b64 s[24:25], exec, s[0:1]
	s_cbranch_execnz .LBB5_9
; %bb.2:
	s_or_saveexec_b64 s[24:25], s[24:25]
                                        ; implicit-def: $vgpr53
	s_xor_b64 exec, exec, s[24:25]
	s_cbranch_execnz .LBB5_10
.LBB5_3:
	s_or_b64 exec, exec, s[24:25]
	s_and_saveexec_b64 s[0:1], s[22:23]
.LBB5_4:
	; divergent unreachable
.LBB5_5:
	s_or_b64 exec, exec, s[0:1]
                                        ; implicit-def: $vgpr42_vgpr43
                                        ; implicit-def: $vgpr40_vgpr41
                                        ; implicit-def: $vgpr3
.LBB5_6:
	s_andn2_saveexec_b64 s[54:55], s[36:37]
	s_cbranch_execz .LBB5_8
; %bb.7:
	flat_load_dword v0, v[42:43]
	s_getpc_b64 s[0:1]
	s_add_u32 s0, s0, _ZN3sop23sopFactorTrivialCubeRecEjiiPN8subgUtil4SubgILi256EEE@rel32@lo+4
	s_addc_u32 s1, s1, _ZN3sop23sopFactorTrivialCubeRecEjiiPN8subgUtil4SubgILi256EEE@rel32@hi+12
	s_mov_b64 s[8:9], s[34:35]
	v_mov_b32_e32 v1, 0
	v_mov_b32_e32 v2, v3
	;; [unrolled: 1-line block ×4, first 2 shown]
	s_swappc_b64 s[30:31], s[0:1]
	v_mov_b32_e32 v53, v0
.LBB5_8:
	s_or_b64 exec, exec, s[54:55]
	scratch_load_dword v56, off, s33        ; 4-byte Folded Reload
	scratch_load_dword v47, off, s33 offset:4 ; 4-byte Folded Reload
	scratch_load_dword v46, off, s33 offset:8 ; 4-byte Folded Reload
	;; [unrolled: 1-line block ×8, first 2 shown]
	v_readlane_b32 s30, v57, 14
	v_mov_b32_e32 v0, v53
	v_readlane_b32 s31, v57, 15
	v_readlane_b32 s55, v57, 13
	;; [unrolled: 1-line block ×15, first 2 shown]
	s_mov_b32 s32, s33
	v_readlane_b32 s0, v57, 16
	s_or_saveexec_b64 s[2:3], -1
	scratch_load_dword v57, off, s33 offset:36 ; 4-byte Folded Reload
	s_mov_b64 exec, s[2:3]
	s_mov_b32 s33, s0
	s_waitcnt vmcnt(0) lgkmcnt(0)
	s_setpc_b64 s[30:31]
.LBB5_9:
	s_getpc_b64 s[0:1]
	s_add_u32 s0, s0, .str.43@rel32@lo+4
	s_addc_u32 s1, s1, .str.43@rel32@hi+12
	s_getpc_b64 s[2:3]
	s_add_u32 s2, s2, .str.44@rel32@lo+4
	s_addc_u32 s3, s3, .str.44@rel32@hi+12
	s_getpc_b64 s[4:5]
	s_add_u32 s4, s4, __PRETTY_FUNCTION__._ZN8subgUtil4SubgILi256EE9addNodeOrEii@rel32@lo+4
	s_addc_u32 s5, s5, __PRETTY_FUNCTION__._ZN8subgUtil4SubgILi256EE9addNodeOrEii@rel32@hi+12
	s_getpc_b64 s[6:7]
	s_add_u32 s6, s6, __assert_fail@rel32@lo+4
	s_addc_u32 s7, s7, __assert_fail@rel32@hi+12
	s_mov_b64 s[8:9], s[34:35]
	v_mov_b32_e32 v0, s0
	v_mov_b32_e32 v1, s1
	;; [unrolled: 1-line block ×7, first 2 shown]
	s_swappc_b64 s[30:31], s[6:7]
	s_mov_b64 s[22:23], exec
                                        ; implicit-def: $vgpr0
                                        ; implicit-def: $vgpr44
                                        ; implicit-def: $vgpr40_vgpr41
	s_or_saveexec_b64 s[24:25], s[24:25]
                                        ; implicit-def: $vgpr53
	s_xor_b64 exec, exec, s[24:25]
	s_cbranch_execz .LBB5_3
.LBB5_10:
	v_max_i32_e32 v4, v44, v0
	v_min_i32_e32 v39, v44, v0
	v_xor_b32_e32 v1, 1, v39
	v_xor_b32_e32 v38, 1, v4
	v_cmp_gt_i32_e64 s[0:1], v1, v38
	s_and_saveexec_b64 s[4:5], s[0:1]
	s_cbranch_execz .LBB5_199
; %bb.11:
	s_load_dwordx2 s[6:7], s[34:35], 0x50
	v_mbcnt_lo_u32_b32 v2, -1, 0
	v_mbcnt_hi_u32_b32 v5, -1, v2
	v_mov_b64_e32 v[2:3], 0
	v_readfirstlane_b32 s2, v5
	s_nop 1
	v_cmp_eq_u32_e64 s[2:3], s2, v5
	s_and_saveexec_b64 s[8:9], s[2:3]
	s_cbranch_execz .LBB5_17
; %bb.12:
	v_mov_b32_e32 v6, 0
	s_waitcnt lgkmcnt(0)
	global_load_dwordx2 v[10:11], v6, s[6:7] offset:24 sc0 sc1
	s_waitcnt vmcnt(0)
	buffer_inv sc0 sc1
	global_load_dwordx2 v[2:3], v6, s[6:7] offset:40
	global_load_dwordx2 v[8:9], v6, s[6:7]
	s_waitcnt vmcnt(1)
	v_and_b32_e32 v2, v2, v10
	v_and_b32_e32 v3, v3, v11
	v_mul_lo_u32 v3, v3, 24
	v_mul_hi_u32 v7, v2, 24
	v_add_u32_e32 v3, v7, v3
	v_mul_lo_u32 v2, v2, 24
	s_waitcnt vmcnt(0)
	v_lshl_add_u64 v[2:3], v[8:9], 0, v[2:3]
	global_load_dwordx2 v[8:9], v[2:3], off sc0 sc1
	s_waitcnt vmcnt(0)
	global_atomic_cmpswap_x2 v[2:3], v6, v[8:11], s[6:7] offset:24 sc0 sc1
	s_waitcnt vmcnt(0)
	buffer_inv sc0 sc1
	v_cmp_ne_u64_e32 vcc, v[2:3], v[10:11]
	s_and_saveexec_b64 s[10:11], vcc
	s_cbranch_execz .LBB5_16
; %bb.13:
	s_mov_b64 s[12:13], 0
.LBB5_14:                               ; =>This Inner Loop Header: Depth=1
	s_sleep 1
	global_load_dwordx2 v[8:9], v6, s[6:7] offset:40
	global_load_dwordx2 v[12:13], v6, s[6:7]
	v_mov_b64_e32 v[10:11], v[2:3]
	s_waitcnt vmcnt(1)
	v_and_b32_e32 v2, v8, v10
	s_waitcnt vmcnt(0)
	v_mad_u64_u32 v[2:3], s[14:15], v2, 24, v[12:13]
	v_and_b32_e32 v7, v9, v11
	v_mov_b32_e32 v8, v3
	v_mad_u64_u32 v[8:9], s[14:15], v7, 24, v[8:9]
	v_mov_b32_e32 v3, v8
	global_load_dwordx2 v[8:9], v[2:3], off sc0 sc1
	s_waitcnt vmcnt(0)
	global_atomic_cmpswap_x2 v[2:3], v6, v[8:11], s[6:7] offset:24 sc0 sc1
	s_waitcnt vmcnt(0)
	buffer_inv sc0 sc1
	v_cmp_eq_u64_e32 vcc, v[2:3], v[10:11]
	s_or_b64 s[12:13], vcc, s[12:13]
	s_andn2_b64 exec, exec, s[12:13]
	s_cbranch_execnz .LBB5_14
; %bb.15:
	s_or_b64 exec, exec, s[12:13]
.LBB5_16:
	s_or_b64 exec, exec, s[10:11]
.LBB5_17:
	s_or_b64 exec, exec, s[8:9]
	v_mov_b32_e32 v33, 0
	s_waitcnt lgkmcnt(0)
	global_load_dwordx2 v[10:11], v33, s[6:7] offset:40
	global_load_dwordx4 v[6:9], v33, s[6:7]
	v_readfirstlane_b32 s9, v3
	v_readfirstlane_b32 s8, v2
	s_mov_b64 s[10:11], exec
	s_waitcnt vmcnt(1)
	v_readfirstlane_b32 s12, v10
	v_readfirstlane_b32 s13, v11
	s_and_b64 s[12:13], s[12:13], s[8:9]
	s_mul_i32 s14, s13, 24
	s_mul_hi_u32 s15, s12, 24
	s_add_i32 s15, s15, s14
	s_mul_i32 s14, s12, 24
	s_waitcnt vmcnt(0)
	v_lshl_add_u64 v[2:3], v[6:7], 0, s[14:15]
	s_and_saveexec_b64 s[14:15], s[2:3]
	s_cbranch_execz .LBB5_19
; %bb.18:
	v_mov_b64_e32 v[10:11], s[10:11]
	v_mov_b32_e32 v12, 2
	v_mov_b32_e32 v13, 1
	global_store_dwordx4 v[2:3], v[10:13], off offset:8
.LBB5_19:
	s_or_b64 exec, exec, s[14:15]
	s_lshl_b64 s[10:11], s[12:13], 12
	v_lshl_add_u64 v[10:11], v[8:9], 0, s[10:11]
	s_mov_b32 s12, 0
	v_lshlrev_b32_e32 v32, 6, v5
	v_mov_b32_e32 v12, 33
	v_mov_b32_e32 v13, v33
	;; [unrolled: 1-line block ×4, first 2 shown]
	v_readfirstlane_b32 s10, v10
	v_readfirstlane_b32 s11, v11
	s_mov_b32 s13, s12
	s_mov_b32 s14, s12
	;; [unrolled: 1-line block ×3, first 2 shown]
	s_nop 1
	global_store_dwordx4 v32, v[12:15], s[10:11]
	s_nop 1
	v_mov_b64_e32 v[12:13], s[12:13]
	v_mov_b64_e32 v[14:15], s[14:15]
	global_store_dwordx4 v32, v[12:15], s[10:11] offset:16
	global_store_dwordx4 v32, v[12:15], s[10:11] offset:32
	;; [unrolled: 1-line block ×3, first 2 shown]
	s_and_saveexec_b64 s[10:11], s[2:3]
	s_cbranch_execz .LBB5_27
; %bb.20:
	v_mov_b32_e32 v14, 0
	global_load_dwordx2 v[18:19], v14, s[6:7] offset:32 sc0 sc1
	global_load_dwordx2 v[8:9], v14, s[6:7] offset:40
	v_mov_b32_e32 v16, s8
	v_mov_b32_e32 v17, s9
	s_waitcnt vmcnt(0)
	v_and_b32_e32 v8, s8, v8
	v_and_b32_e32 v9, s9, v9
	v_mul_lo_u32 v9, v9, 24
	v_mul_hi_u32 v12, v8, 24
	v_mul_lo_u32 v8, v8, 24
	v_add_u32_e32 v9, v12, v9
	v_lshl_add_u64 v[12:13], v[6:7], 0, v[8:9]
	global_store_dwordx2 v[12:13], v[18:19], off
	buffer_wbl2 sc0 sc1
	s_waitcnt vmcnt(0)
	global_atomic_cmpswap_x2 v[8:9], v14, v[16:19], s[6:7] offset:32 sc0 sc1
	s_waitcnt vmcnt(0)
	v_cmp_ne_u64_e32 vcc, v[8:9], v[18:19]
	s_and_saveexec_b64 s[12:13], vcc
	s_cbranch_execz .LBB5_23
; %bb.21:
	s_mov_b64 s[14:15], 0
.LBB5_22:                               ; =>This Inner Loop Header: Depth=1
	s_sleep 1
	global_store_dwordx2 v[12:13], v[8:9], off
	v_mov_b32_e32 v6, s8
	v_mov_b32_e32 v7, s9
	buffer_wbl2 sc0 sc1
	s_waitcnt vmcnt(0)
	global_atomic_cmpswap_x2 v[6:7], v14, v[6:9], s[6:7] offset:32 sc0 sc1
	s_waitcnt vmcnt(0)
	v_cmp_eq_u64_e32 vcc, v[6:7], v[8:9]
	s_or_b64 s[14:15], vcc, s[14:15]
	v_mov_b64_e32 v[8:9], v[6:7]
	s_andn2_b64 exec, exec, s[14:15]
	s_cbranch_execnz .LBB5_22
.LBB5_23:
	s_or_b64 exec, exec, s[12:13]
	v_mov_b32_e32 v9, 0
	global_load_dwordx2 v[6:7], v9, s[6:7] offset:16
	s_mov_b64 s[12:13], exec
	v_mbcnt_lo_u32_b32 v8, s12, 0
	v_mbcnt_hi_u32_b32 v8, s13, v8
	v_cmp_eq_u32_e32 vcc, 0, v8
	s_and_saveexec_b64 s[14:15], vcc
	s_cbranch_execz .LBB5_25
; %bb.24:
	s_bcnt1_i32_b64 s12, s[12:13]
	v_mov_b32_e32 v8, s12
	buffer_wbl2 sc0 sc1
	s_waitcnt vmcnt(0)
	global_atomic_add_x2 v[6:7], v[8:9], off offset:8 sc1
.LBB5_25:
	s_or_b64 exec, exec, s[14:15]
	s_waitcnt vmcnt(0)
	global_load_dwordx2 v[8:9], v[6:7], off offset:16
	s_waitcnt vmcnt(0)
	v_cmp_eq_u64_e32 vcc, 0, v[8:9]
	s_cbranch_vccnz .LBB5_27
; %bb.26:
	global_load_dword v6, v[6:7], off offset:24
	v_mov_b32_e32 v7, 0
	s_waitcnt vmcnt(0)
	v_readfirstlane_b32 s12, v6
	s_and_b32 m0, s12, 0xffffff
	buffer_wbl2 sc0 sc1
	global_store_dwordx2 v[8:9], v[6:7], off sc0 sc1
	s_sendmsg sendmsg(MSG_INTERRUPT)
.LBB5_27:
	s_or_b64 exec, exec, s[10:11]
	v_lshl_add_u64 v[6:7], v[10:11], 0, v[32:33]
	s_branch .LBB5_31
.LBB5_28:                               ;   in Loop: Header=BB5_31 Depth=1
	s_or_b64 exec, exec, s[10:11]
	v_readfirstlane_b32 s10, v8
	s_cmp_eq_u32 s10, 0
	s_cbranch_scc1 .LBB5_30
; %bb.29:                               ;   in Loop: Header=BB5_31 Depth=1
	s_sleep 1
	s_cbranch_execnz .LBB5_31
	s_branch .LBB5_33
.LBB5_30:
	s_branch .LBB5_33
.LBB5_31:                               ; =>This Inner Loop Header: Depth=1
	v_mov_b32_e32 v8, 1
	s_and_saveexec_b64 s[10:11], s[2:3]
	s_cbranch_execz .LBB5_28
; %bb.32:                               ;   in Loop: Header=BB5_31 Depth=1
	global_load_dword v8, v[2:3], off offset:20 sc0 sc1
	s_waitcnt vmcnt(0)
	buffer_inv sc0 sc1
	v_and_b32_e32 v8, 1, v8
	s_branch .LBB5_28
.LBB5_33:
	global_load_dwordx2 v[6:7], v[6:7], off
	s_and_saveexec_b64 s[10:11], s[2:3]
	s_cbranch_execz .LBB5_36
; %bb.34:
	v_mov_b32_e32 v12, 0
	global_load_dwordx2 v[2:3], v12, s[6:7] offset:40
	global_load_dwordx2 v[16:17], v12, s[6:7] offset:24 sc0 sc1
	global_load_dwordx2 v[8:9], v12, s[6:7]
	s_waitcnt vmcnt(2)
	v_readfirstlane_b32 s12, v2
	v_readfirstlane_b32 s13, v3
	s_add_u32 s14, s12, 1
	s_addc_u32 s15, s13, 0
	s_add_u32 s2, s14, s8
	s_addc_u32 s3, s15, s9
	s_cmp_eq_u64 s[2:3], 0
	s_cselect_b32 s3, s15, s3
	s_cselect_b32 s2, s14, s2
	s_and_b64 s[8:9], s[2:3], s[12:13]
	s_mul_i32 s9, s9, 24
	s_mul_hi_u32 s12, s8, 24
	s_mul_i32 s8, s8, 24
	s_add_i32 s9, s12, s9
	s_waitcnt vmcnt(0)
	v_lshl_add_u64 v[2:3], v[8:9], 0, s[8:9]
	v_mov_b32_e32 v14, s2
	global_store_dwordx2 v[2:3], v[16:17], off
	v_mov_b32_e32 v15, s3
	buffer_wbl2 sc0 sc1
	s_waitcnt vmcnt(0)
	global_atomic_cmpswap_x2 v[10:11], v12, v[14:17], s[6:7] offset:24 sc0 sc1
	s_mov_b64 s[8:9], 0
	s_waitcnt vmcnt(0)
	v_cmp_ne_u64_e32 vcc, v[10:11], v[16:17]
	s_and_b64 exec, exec, vcc
	s_cbranch_execz .LBB5_36
.LBB5_35:                               ; =>This Inner Loop Header: Depth=1
	s_sleep 1
	global_store_dwordx2 v[2:3], v[10:11], off
	v_mov_b32_e32 v8, s2
	v_mov_b32_e32 v9, s3
	buffer_wbl2 sc0 sc1
	s_waitcnt vmcnt(0)
	global_atomic_cmpswap_x2 v[8:9], v12, v[8:11], s[6:7] offset:24 sc0 sc1
	s_waitcnt vmcnt(0)
	v_cmp_eq_u64_e32 vcc, v[8:9], v[10:11]
	s_or_b64 s[8:9], vcc, s[8:9]
	v_mov_b64_e32 v[10:11], v[8:9]
	s_andn2_b64 exec, exec, s[8:9]
	s_cbranch_execnz .LBB5_35
.LBB5_36:
	s_or_b64 exec, exec, s[10:11]
	s_getpc_b64 s[8:9]
	s_add_u32 s8, s8, .str.45@rel32@lo+4
	s_addc_u32 s9, s9, .str.45@rel32@hi+12
	s_cmp_lg_u64 s[8:9], 0
	s_cbranch_scc0 .LBB5_122
; %bb.37:
	s_waitcnt vmcnt(0)
	v_and_b32_e32 v2, 2, v6
	v_mov_b32_e32 v35, 0
	v_and_b32_e32 v8, -3, v6
	v_mov_b32_e32 v9, v7
	s_mov_b64 s[10:11], 7
	v_mov_b32_e32 v14, 2
	v_mov_b32_e32 v15, 1
	s_branch .LBB5_39
.LBB5_38:                               ;   in Loop: Header=BB5_39 Depth=1
	s_or_b64 exec, exec, s[16:17]
	s_sub_u32 s10, s10, s12
	s_subb_u32 s11, s11, s13
	s_add_u32 s8, s8, s12
	s_addc_u32 s9, s9, s13
	s_cmp_lg_u64 s[10:11], 0
	s_cbranch_scc0 .LBB5_121
.LBB5_39:                               ; =>This Loop Header: Depth=1
                                        ;     Child Loop BB5_42 Depth 2
                                        ;     Child Loop BB5_50 Depth 2
	;; [unrolled: 1-line block ×11, first 2 shown]
	v_cmp_lt_u64_e64 s[2:3], s[10:11], 56
	s_and_b64 s[2:3], s[2:3], exec
	s_cselect_b32 s13, s11, 0
	s_cselect_b32 s12, s10, 56
	v_cmp_gt_u64_e64 s[14:15], s[10:11], 7
	s_add_u32 s2, s8, 8
	s_addc_u32 s3, s9, 0
	s_and_b64 vcc, exec, s[14:15]
	s_cbranch_vccnz .LBB5_43
; %bb.40:                               ;   in Loop: Header=BB5_39 Depth=1
	s_cmp_eq_u64 s[10:11], 0
	s_cbranch_scc1 .LBB5_44
; %bb.41:                               ;   in Loop: Header=BB5_39 Depth=1
	s_lshl_b64 s[2:3], s[12:13], 3
	s_mov_b64 s[14:15], 0
	v_mov_b64_e32 v[10:11], 0
	s_mov_b64 s[16:17], s[8:9]
.LBB5_42:                               ;   Parent Loop BB5_39 Depth=1
                                        ; =>  This Inner Loop Header: Depth=2
	global_load_ubyte v3, v35, s[16:17]
	s_waitcnt vmcnt(0)
	v_and_b32_e32 v34, 0xffff, v3
	v_lshlrev_b64 v[12:13], s14, v[34:35]
	s_add_u32 s14, s14, 8
	s_addc_u32 s15, s15, 0
	s_add_u32 s16, s16, 1
	s_addc_u32 s17, s17, 0
	v_or_b32_e32 v10, v12, v10
	s_cmp_lg_u32 s2, s14
	v_or_b32_e32 v11, v13, v11
	s_cbranch_scc1 .LBB5_42
	s_branch .LBB5_45
.LBB5_43:                               ;   in Loop: Header=BB5_39 Depth=1
	s_mov_b32 s18, 0
	s_branch .LBB5_46
.LBB5_44:                               ;   in Loop: Header=BB5_39 Depth=1
	v_mov_b64_e32 v[10:11], 0
.LBB5_45:                               ;   in Loop: Header=BB5_39 Depth=1
	s_mov_b64 s[2:3], s[8:9]
	s_mov_b32 s18, 0
	s_cbranch_execnz .LBB5_47
.LBB5_46:                               ;   in Loop: Header=BB5_39 Depth=1
	global_load_dwordx2 v[10:11], v35, s[8:9]
	s_add_i32 s18, s12, -8
.LBB5_47:                               ;   in Loop: Header=BB5_39 Depth=1
	s_add_u32 s14, s2, 8
	s_addc_u32 s15, s3, 0
	s_cmp_gt_u32 s18, 7
	s_cbranch_scc1 .LBB5_51
; %bb.48:                               ;   in Loop: Header=BB5_39 Depth=1
	s_cmp_eq_u32 s18, 0
	s_cbranch_scc1 .LBB5_52
; %bb.49:                               ;   in Loop: Header=BB5_39 Depth=1
	s_mov_b64 s[14:15], 0
	v_mov_b64_e32 v[16:17], 0
	s_mov_b64 s[16:17], 0
.LBB5_50:                               ;   Parent Loop BB5_39 Depth=1
                                        ; =>  This Inner Loop Header: Depth=2
	s_add_u32 s20, s2, s16
	s_addc_u32 s21, s3, s17
	global_load_ubyte v3, v35, s[20:21]
	s_add_u32 s16, s16, 1
	s_addc_u32 s17, s17, 0
	s_waitcnt vmcnt(0)
	v_and_b32_e32 v34, 0xffff, v3
	v_lshlrev_b64 v[12:13], s14, v[34:35]
	s_add_u32 s14, s14, 8
	s_addc_u32 s15, s15, 0
	v_or_b32_e32 v16, v12, v16
	s_cmp_lg_u32 s18, s16
	v_or_b32_e32 v17, v13, v17
	s_cbranch_scc1 .LBB5_50
	s_branch .LBB5_53
.LBB5_51:                               ;   in Loop: Header=BB5_39 Depth=1
                                        ; implicit-def: $vgpr16_vgpr17
	s_mov_b32 s19, 0
	s_branch .LBB5_54
.LBB5_52:                               ;   in Loop: Header=BB5_39 Depth=1
	v_mov_b64_e32 v[16:17], 0
.LBB5_53:                               ;   in Loop: Header=BB5_39 Depth=1
	s_mov_b64 s[14:15], s[2:3]
	s_mov_b32 s19, 0
	s_cbranch_execnz .LBB5_55
.LBB5_54:                               ;   in Loop: Header=BB5_39 Depth=1
	global_load_dwordx2 v[16:17], v35, s[2:3]
	s_add_i32 s19, s18, -8
.LBB5_55:                               ;   in Loop: Header=BB5_39 Depth=1
	s_add_u32 s2, s14, 8
	s_addc_u32 s3, s15, 0
	s_cmp_gt_u32 s19, 7
	s_cbranch_scc1 .LBB5_59
; %bb.56:                               ;   in Loop: Header=BB5_39 Depth=1
	s_cmp_eq_u32 s19, 0
	s_cbranch_scc1 .LBB5_60
; %bb.57:                               ;   in Loop: Header=BB5_39 Depth=1
	s_mov_b64 s[2:3], 0
	v_mov_b64_e32 v[18:19], 0
	s_mov_b64 s[16:17], 0
.LBB5_58:                               ;   Parent Loop BB5_39 Depth=1
                                        ; =>  This Inner Loop Header: Depth=2
	s_add_u32 s20, s14, s16
	s_addc_u32 s21, s15, s17
	global_load_ubyte v3, v35, s[20:21]
	s_add_u32 s16, s16, 1
	s_addc_u32 s17, s17, 0
	s_waitcnt vmcnt(0)
	v_and_b32_e32 v34, 0xffff, v3
	v_lshlrev_b64 v[12:13], s2, v[34:35]
	s_add_u32 s2, s2, 8
	s_addc_u32 s3, s3, 0
	v_or_b32_e32 v18, v12, v18
	s_cmp_lg_u32 s19, s16
	v_or_b32_e32 v19, v13, v19
	s_cbranch_scc1 .LBB5_58
	s_branch .LBB5_61
.LBB5_59:                               ;   in Loop: Header=BB5_39 Depth=1
	s_mov_b32 s18, 0
	s_branch .LBB5_62
.LBB5_60:                               ;   in Loop: Header=BB5_39 Depth=1
	v_mov_b64_e32 v[18:19], 0
.LBB5_61:                               ;   in Loop: Header=BB5_39 Depth=1
	s_mov_b64 s[2:3], s[14:15]
	s_mov_b32 s18, 0
	s_cbranch_execnz .LBB5_63
.LBB5_62:                               ;   in Loop: Header=BB5_39 Depth=1
	global_load_dwordx2 v[18:19], v35, s[14:15]
	s_add_i32 s18, s19, -8
.LBB5_63:                               ;   in Loop: Header=BB5_39 Depth=1
	s_add_u32 s14, s2, 8
	s_addc_u32 s15, s3, 0
	s_cmp_gt_u32 s18, 7
	s_cbranch_scc1 .LBB5_67
; %bb.64:                               ;   in Loop: Header=BB5_39 Depth=1
	s_cmp_eq_u32 s18, 0
	s_cbranch_scc1 .LBB5_68
; %bb.65:                               ;   in Loop: Header=BB5_39 Depth=1
	s_mov_b64 s[14:15], 0
	v_mov_b64_e32 v[20:21], 0
	s_mov_b64 s[16:17], 0
.LBB5_66:                               ;   Parent Loop BB5_39 Depth=1
                                        ; =>  This Inner Loop Header: Depth=2
	s_add_u32 s20, s2, s16
	s_addc_u32 s21, s3, s17
	global_load_ubyte v3, v35, s[20:21]
	s_add_u32 s16, s16, 1
	s_addc_u32 s17, s17, 0
	s_waitcnt vmcnt(0)
	v_and_b32_e32 v34, 0xffff, v3
	v_lshlrev_b64 v[12:13], s14, v[34:35]
	s_add_u32 s14, s14, 8
	s_addc_u32 s15, s15, 0
	v_or_b32_e32 v20, v12, v20
	s_cmp_lg_u32 s18, s16
	v_or_b32_e32 v21, v13, v21
	s_cbranch_scc1 .LBB5_66
	s_branch .LBB5_69
.LBB5_67:                               ;   in Loop: Header=BB5_39 Depth=1
                                        ; implicit-def: $vgpr20_vgpr21
	s_mov_b32 s19, 0
	s_branch .LBB5_70
.LBB5_68:                               ;   in Loop: Header=BB5_39 Depth=1
	v_mov_b64_e32 v[20:21], 0
.LBB5_69:                               ;   in Loop: Header=BB5_39 Depth=1
	s_mov_b64 s[14:15], s[2:3]
	s_mov_b32 s19, 0
	s_cbranch_execnz .LBB5_71
.LBB5_70:                               ;   in Loop: Header=BB5_39 Depth=1
	global_load_dwordx2 v[20:21], v35, s[2:3]
	s_add_i32 s19, s18, -8
.LBB5_71:                               ;   in Loop: Header=BB5_39 Depth=1
	s_add_u32 s2, s14, 8
	s_addc_u32 s3, s15, 0
	s_cmp_gt_u32 s19, 7
	s_cbranch_scc1 .LBB5_75
; %bb.72:                               ;   in Loop: Header=BB5_39 Depth=1
	s_cmp_eq_u32 s19, 0
	s_cbranch_scc1 .LBB5_76
; %bb.73:                               ;   in Loop: Header=BB5_39 Depth=1
	s_mov_b64 s[2:3], 0
	v_mov_b64_e32 v[22:23], 0
	s_mov_b64 s[16:17], 0
.LBB5_74:                               ;   Parent Loop BB5_39 Depth=1
                                        ; =>  This Inner Loop Header: Depth=2
	s_add_u32 s20, s14, s16
	s_addc_u32 s21, s15, s17
	global_load_ubyte v3, v35, s[20:21]
	s_add_u32 s16, s16, 1
	s_addc_u32 s17, s17, 0
	s_waitcnt vmcnt(0)
	v_and_b32_e32 v34, 0xffff, v3
	v_lshlrev_b64 v[12:13], s2, v[34:35]
	s_add_u32 s2, s2, 8
	s_addc_u32 s3, s3, 0
	v_or_b32_e32 v22, v12, v22
	s_cmp_lg_u32 s19, s16
	v_or_b32_e32 v23, v13, v23
	s_cbranch_scc1 .LBB5_74
	s_branch .LBB5_77
.LBB5_75:                               ;   in Loop: Header=BB5_39 Depth=1
	s_mov_b32 s18, 0
	s_branch .LBB5_78
.LBB5_76:                               ;   in Loop: Header=BB5_39 Depth=1
	v_mov_b64_e32 v[22:23], 0
.LBB5_77:                               ;   in Loop: Header=BB5_39 Depth=1
	s_mov_b64 s[2:3], s[14:15]
	s_mov_b32 s18, 0
	s_cbranch_execnz .LBB5_79
.LBB5_78:                               ;   in Loop: Header=BB5_39 Depth=1
	global_load_dwordx2 v[22:23], v35, s[14:15]
	s_add_i32 s18, s19, -8
.LBB5_79:                               ;   in Loop: Header=BB5_39 Depth=1
	s_add_u32 s14, s2, 8
	s_addc_u32 s15, s3, 0
	s_cmp_gt_u32 s18, 7
	s_cbranch_scc1 .LBB5_83
; %bb.80:                               ;   in Loop: Header=BB5_39 Depth=1
	s_cmp_eq_u32 s18, 0
	s_cbranch_scc1 .LBB5_84
; %bb.81:                               ;   in Loop: Header=BB5_39 Depth=1
	s_mov_b64 s[14:15], 0
	v_mov_b64_e32 v[24:25], 0
	s_mov_b64 s[16:17], 0
.LBB5_82:                               ;   Parent Loop BB5_39 Depth=1
                                        ; =>  This Inner Loop Header: Depth=2
	s_add_u32 s20, s2, s16
	s_addc_u32 s21, s3, s17
	global_load_ubyte v3, v35, s[20:21]
	s_add_u32 s16, s16, 1
	s_addc_u32 s17, s17, 0
	s_waitcnt vmcnt(0)
	v_and_b32_e32 v34, 0xffff, v3
	v_lshlrev_b64 v[12:13], s14, v[34:35]
	s_add_u32 s14, s14, 8
	s_addc_u32 s15, s15, 0
	v_or_b32_e32 v24, v12, v24
	s_cmp_lg_u32 s18, s16
	v_or_b32_e32 v25, v13, v25
	s_cbranch_scc1 .LBB5_82
	s_branch .LBB5_85
.LBB5_83:                               ;   in Loop: Header=BB5_39 Depth=1
                                        ; implicit-def: $vgpr24_vgpr25
	s_mov_b32 s19, 0
	s_branch .LBB5_86
.LBB5_84:                               ;   in Loop: Header=BB5_39 Depth=1
	v_mov_b64_e32 v[24:25], 0
.LBB5_85:                               ;   in Loop: Header=BB5_39 Depth=1
	s_mov_b64 s[14:15], s[2:3]
	s_mov_b32 s19, 0
	s_cbranch_execnz .LBB5_87
.LBB5_86:                               ;   in Loop: Header=BB5_39 Depth=1
	global_load_dwordx2 v[24:25], v35, s[2:3]
	s_add_i32 s19, s18, -8
.LBB5_87:                               ;   in Loop: Header=BB5_39 Depth=1
	s_cmp_gt_u32 s19, 7
	s_cbranch_scc1 .LBB5_91
; %bb.88:                               ;   in Loop: Header=BB5_39 Depth=1
	s_cmp_eq_u32 s19, 0
	s_cbranch_scc1 .LBB5_92
; %bb.89:                               ;   in Loop: Header=BB5_39 Depth=1
	s_mov_b64 s[2:3], 0
	v_mov_b64_e32 v[26:27], 0
	s_mov_b64 s[16:17], s[14:15]
.LBB5_90:                               ;   Parent Loop BB5_39 Depth=1
                                        ; =>  This Inner Loop Header: Depth=2
	global_load_ubyte v3, v35, s[16:17]
	s_add_i32 s19, s19, -1
	s_waitcnt vmcnt(0)
	v_and_b32_e32 v34, 0xffff, v3
	v_lshlrev_b64 v[12:13], s2, v[34:35]
	s_add_u32 s2, s2, 8
	s_addc_u32 s3, s3, 0
	s_add_u32 s16, s16, 1
	s_addc_u32 s17, s17, 0
	v_or_b32_e32 v26, v12, v26
	s_cmp_lg_u32 s19, 0
	v_or_b32_e32 v27, v13, v27
	s_cbranch_scc1 .LBB5_90
	s_branch .LBB5_93
.LBB5_91:                               ;   in Loop: Header=BB5_39 Depth=1
	s_branch .LBB5_94
.LBB5_92:                               ;   in Loop: Header=BB5_39 Depth=1
	v_mov_b64_e32 v[26:27], 0
.LBB5_93:                               ;   in Loop: Header=BB5_39 Depth=1
	s_cbranch_execnz .LBB5_95
.LBB5_94:                               ;   in Loop: Header=BB5_39 Depth=1
	global_load_dwordx2 v[26:27], v35, s[14:15]
.LBB5_95:                               ;   in Loop: Header=BB5_39 Depth=1
	v_readfirstlane_b32 s2, v5
	v_mov_b64_e32 v[12:13], 0
	s_nop 0
	v_cmp_eq_u32_e64 s[2:3], s2, v5
	s_and_saveexec_b64 s[14:15], s[2:3]
	s_cbranch_execz .LBB5_101
; %bb.96:                               ;   in Loop: Header=BB5_39 Depth=1
	global_load_dwordx2 v[30:31], v35, s[6:7] offset:24 sc0 sc1
	s_waitcnt vmcnt(0)
	buffer_inv sc0 sc1
	global_load_dwordx2 v[12:13], v35, s[6:7] offset:40
	global_load_dwordx2 v[28:29], v35, s[6:7]
	s_waitcnt vmcnt(1)
	v_and_b32_e32 v3, v12, v30
	v_and_b32_e32 v12, v13, v31
	v_mul_lo_u32 v12, v12, 24
	v_mul_hi_u32 v13, v3, 24
	v_add_u32_e32 v13, v13, v12
	v_mul_lo_u32 v12, v3, 24
	s_waitcnt vmcnt(0)
	v_lshl_add_u64 v[12:13], v[28:29], 0, v[12:13]
	global_load_dwordx2 v[28:29], v[12:13], off sc0 sc1
	s_waitcnt vmcnt(0)
	global_atomic_cmpswap_x2 v[12:13], v35, v[28:31], s[6:7] offset:24 sc0 sc1
	s_waitcnt vmcnt(0)
	buffer_inv sc0 sc1
	v_cmp_ne_u64_e32 vcc, v[12:13], v[30:31]
	s_and_saveexec_b64 s[16:17], vcc
	s_cbranch_execz .LBB5_100
; %bb.97:                               ;   in Loop: Header=BB5_39 Depth=1
	s_mov_b64 s[18:19], 0
.LBB5_98:                               ;   Parent Loop BB5_39 Depth=1
                                        ; =>  This Inner Loop Header: Depth=2
	s_sleep 1
	global_load_dwordx2 v[28:29], v35, s[6:7] offset:40
	global_load_dwordx2 v[36:37], v35, s[6:7]
	v_mov_b64_e32 v[30:31], v[12:13]
	s_waitcnt vmcnt(1)
	v_and_b32_e32 v12, v28, v30
	s_waitcnt vmcnt(0)
	v_mad_u64_u32 v[12:13], s[20:21], v12, 24, v[36:37]
	v_and_b32_e32 v3, v29, v31
	v_mov_b32_e32 v28, v13
	v_mad_u64_u32 v[28:29], s[20:21], v3, 24, v[28:29]
	v_mov_b32_e32 v13, v28
	global_load_dwordx2 v[28:29], v[12:13], off sc0 sc1
	s_waitcnt vmcnt(0)
	global_atomic_cmpswap_x2 v[12:13], v35, v[28:31], s[6:7] offset:24 sc0 sc1
	s_waitcnt vmcnt(0)
	buffer_inv sc0 sc1
	v_cmp_eq_u64_e32 vcc, v[12:13], v[30:31]
	s_or_b64 s[18:19], vcc, s[18:19]
	s_andn2_b64 exec, exec, s[18:19]
	s_cbranch_execnz .LBB5_98
; %bb.99:                               ;   in Loop: Header=BB5_39 Depth=1
	s_or_b64 exec, exec, s[18:19]
.LBB5_100:                              ;   in Loop: Header=BB5_39 Depth=1
	s_or_b64 exec, exec, s[16:17]
.LBB5_101:                              ;   in Loop: Header=BB5_39 Depth=1
	s_or_b64 exec, exec, s[14:15]
	global_load_dwordx2 v[36:37], v35, s[6:7] offset:40
	global_load_dwordx4 v[28:31], v35, s[6:7]
	v_readfirstlane_b32 s15, v13
	v_readfirstlane_b32 s14, v12
	s_mov_b64 s[16:17], exec
	s_waitcnt vmcnt(1)
	v_readfirstlane_b32 s18, v36
	v_readfirstlane_b32 s19, v37
	s_and_b64 s[18:19], s[18:19], s[14:15]
	s_mul_i32 s20, s19, 24
	s_mul_hi_u32 s21, s18, 24
	s_add_i32 s21, s21, s20
	s_mul_i32 s20, s18, 24
	s_waitcnt vmcnt(0)
	v_lshl_add_u64 v[36:37], v[28:29], 0, s[20:21]
	s_and_saveexec_b64 s[20:21], s[2:3]
	s_cbranch_execz .LBB5_103
; %bb.102:                              ;   in Loop: Header=BB5_39 Depth=1
	v_mov_b64_e32 v[12:13], s[16:17]
	global_store_dwordx4 v[36:37], v[12:15], off offset:8
.LBB5_103:                              ;   in Loop: Header=BB5_39 Depth=1
	s_or_b64 exec, exec, s[20:21]
	s_lshl_b64 s[16:17], s[18:19], 12
	v_lshl_add_u64 v[12:13], v[30:31], 0, s[16:17]
	v_cmp_lt_u64_e64 vcc, s[10:11], 57
	s_lshl_b32 s16, s12, 2
	s_add_i32 s16, s16, 28
	v_cndmask_b32_e32 v3, 0, v2, vcc
	v_and_b32_e32 v8, 0xffffff1f, v8
	s_and_b32 s16, s16, 0x1e0
	v_or_b32_e32 v3, v8, v3
	v_or_b32_e32 v8, s16, v3
	v_readfirstlane_b32 s16, v12
	v_readfirstlane_b32 s17, v13
	s_nop 4
	global_store_dwordx4 v32, v[8:11], s[16:17]
	global_store_dwordx4 v32, v[16:19], s[16:17] offset:16
	global_store_dwordx4 v32, v[20:23], s[16:17] offset:32
	;; [unrolled: 1-line block ×3, first 2 shown]
	s_and_saveexec_b64 s[16:17], s[2:3]
	s_cbranch_execz .LBB5_111
; %bb.104:                              ;   in Loop: Header=BB5_39 Depth=1
	global_load_dwordx2 v[20:21], v35, s[6:7] offset:32 sc0 sc1
	global_load_dwordx2 v[8:9], v35, s[6:7] offset:40
	v_mov_b32_e32 v18, s14
	v_mov_b32_e32 v19, s15
	s_waitcnt vmcnt(0)
	v_readfirstlane_b32 s18, v8
	v_readfirstlane_b32 s19, v9
	s_and_b64 s[18:19], s[18:19], s[14:15]
	s_mul_i32 s19, s19, 24
	s_mul_hi_u32 s20, s18, 24
	s_mul_i32 s18, s18, 24
	s_add_i32 s19, s20, s19
	v_lshl_add_u64 v[16:17], v[28:29], 0, s[18:19]
	global_store_dwordx2 v[16:17], v[20:21], off
	buffer_wbl2 sc0 sc1
	s_waitcnt vmcnt(0)
	global_atomic_cmpswap_x2 v[10:11], v35, v[18:21], s[6:7] offset:32 sc0 sc1
	s_waitcnt vmcnt(0)
	v_cmp_ne_u64_e32 vcc, v[10:11], v[20:21]
	s_and_saveexec_b64 s[18:19], vcc
	s_cbranch_execz .LBB5_107
; %bb.105:                              ;   in Loop: Header=BB5_39 Depth=1
	s_mov_b64 s[20:21], 0
.LBB5_106:                              ;   Parent Loop BB5_39 Depth=1
                                        ; =>  This Inner Loop Header: Depth=2
	s_sleep 1
	global_store_dwordx2 v[16:17], v[10:11], off
	v_mov_b32_e32 v8, s14
	v_mov_b32_e32 v9, s15
	buffer_wbl2 sc0 sc1
	s_waitcnt vmcnt(0)
	global_atomic_cmpswap_x2 v[8:9], v35, v[8:11], s[6:7] offset:32 sc0 sc1
	s_waitcnt vmcnt(0)
	v_cmp_eq_u64_e32 vcc, v[8:9], v[10:11]
	s_or_b64 s[20:21], vcc, s[20:21]
	v_mov_b64_e32 v[10:11], v[8:9]
	s_andn2_b64 exec, exec, s[20:21]
	s_cbranch_execnz .LBB5_106
.LBB5_107:                              ;   in Loop: Header=BB5_39 Depth=1
	s_or_b64 exec, exec, s[18:19]
	global_load_dwordx2 v[8:9], v35, s[6:7] offset:16
	s_mov_b64 s[20:21], exec
	v_mbcnt_lo_u32_b32 v3, s20, 0
	v_mbcnt_hi_u32_b32 v3, s21, v3
	v_cmp_eq_u32_e32 vcc, 0, v3
	s_and_saveexec_b64 s[18:19], vcc
	s_cbranch_execz .LBB5_109
; %bb.108:                              ;   in Loop: Header=BB5_39 Depth=1
	s_bcnt1_i32_b64 s20, s[20:21]
	v_mov_b32_e32 v34, s20
	buffer_wbl2 sc0 sc1
	s_waitcnt vmcnt(0)
	global_atomic_add_x2 v[8:9], v[34:35], off offset:8 sc1
.LBB5_109:                              ;   in Loop: Header=BB5_39 Depth=1
	s_or_b64 exec, exec, s[18:19]
	s_waitcnt vmcnt(0)
	global_load_dwordx2 v[10:11], v[8:9], off offset:16
	s_waitcnt vmcnt(0)
	v_cmp_eq_u64_e32 vcc, 0, v[10:11]
	s_cbranch_vccnz .LBB5_111
; %bb.110:                              ;   in Loop: Header=BB5_39 Depth=1
	global_load_dword v34, v[8:9], off offset:24
	s_waitcnt vmcnt(0)
	v_readfirstlane_b32 s18, v34
	s_and_b32 m0, s18, 0xffffff
	buffer_wbl2 sc0 sc1
	global_store_dwordx2 v[10:11], v[34:35], off sc0 sc1
	s_sendmsg sendmsg(MSG_INTERRUPT)
.LBB5_111:                              ;   in Loop: Header=BB5_39 Depth=1
	s_or_b64 exec, exec, s[16:17]
	v_mov_b32_e32 v33, v35
	v_lshl_add_u64 v[8:9], v[12:13], 0, v[32:33]
	s_branch .LBB5_115
.LBB5_112:                              ;   in Loop: Header=BB5_115 Depth=2
	s_or_b64 exec, exec, s[16:17]
	v_readfirstlane_b32 s16, v3
	s_cmp_eq_u32 s16, 0
	s_cbranch_scc1 .LBB5_114
; %bb.113:                              ;   in Loop: Header=BB5_115 Depth=2
	s_sleep 1
	s_cbranch_execnz .LBB5_115
	s_branch .LBB5_117
.LBB5_114:                              ;   in Loop: Header=BB5_39 Depth=1
	s_branch .LBB5_117
.LBB5_115:                              ;   Parent Loop BB5_39 Depth=1
                                        ; =>  This Inner Loop Header: Depth=2
	v_mov_b32_e32 v3, 1
	s_and_saveexec_b64 s[16:17], s[2:3]
	s_cbranch_execz .LBB5_112
; %bb.116:                              ;   in Loop: Header=BB5_115 Depth=2
	global_load_dword v3, v[36:37], off offset:20 sc0 sc1
	s_waitcnt vmcnt(0)
	buffer_inv sc0 sc1
	v_and_b32_e32 v3, 1, v3
	s_branch .LBB5_112
.LBB5_117:                              ;   in Loop: Header=BB5_39 Depth=1
	global_load_dwordx2 v[8:9], v[8:9], off
	s_and_saveexec_b64 s[16:17], s[2:3]
	s_cbranch_execz .LBB5_38
; %bb.118:                              ;   in Loop: Header=BB5_39 Depth=1
	global_load_dwordx2 v[10:11], v35, s[6:7] offset:40
	global_load_dwordx2 v[20:21], v35, s[6:7] offset:24 sc0 sc1
	global_load_dwordx2 v[12:13], v35, s[6:7]
	s_waitcnt vmcnt(2)
	v_readfirstlane_b32 s18, v10
	v_readfirstlane_b32 s19, v11
	s_add_u32 s20, s18, 1
	s_addc_u32 s21, s19, 0
	s_add_u32 s2, s20, s14
	s_addc_u32 s3, s21, s15
	s_cmp_eq_u64 s[2:3], 0
	s_cselect_b32 s3, s21, s3
	s_cselect_b32 s2, s20, s2
	s_and_b64 s[14:15], s[2:3], s[18:19]
	s_mul_i32 s15, s15, 24
	s_mul_hi_u32 s18, s14, 24
	s_mul_i32 s14, s14, 24
	s_add_i32 s15, s18, s15
	s_waitcnt vmcnt(0)
	v_lshl_add_u64 v[16:17], v[12:13], 0, s[14:15]
	v_mov_b32_e32 v18, s2
	global_store_dwordx2 v[16:17], v[20:21], off
	v_mov_b32_e32 v19, s3
	buffer_wbl2 sc0 sc1
	s_waitcnt vmcnt(0)
	global_atomic_cmpswap_x2 v[12:13], v35, v[18:21], s[6:7] offset:24 sc0 sc1
	s_waitcnt vmcnt(0)
	v_cmp_ne_u64_e32 vcc, v[12:13], v[20:21]
	s_and_b64 exec, exec, vcc
	s_cbranch_execz .LBB5_38
; %bb.119:                              ;   in Loop: Header=BB5_39 Depth=1
	s_mov_b64 s[14:15], 0
.LBB5_120:                              ;   Parent Loop BB5_39 Depth=1
                                        ; =>  This Inner Loop Header: Depth=2
	s_sleep 1
	global_store_dwordx2 v[16:17], v[12:13], off
	v_mov_b32_e32 v10, s2
	v_mov_b32_e32 v11, s3
	buffer_wbl2 sc0 sc1
	s_waitcnt vmcnt(0)
	global_atomic_cmpswap_x2 v[10:11], v35, v[10:13], s[6:7] offset:24 sc0 sc1
	s_waitcnt vmcnt(0)
	v_cmp_eq_u64_e32 vcc, v[10:11], v[12:13]
	s_or_b64 s[14:15], vcc, s[14:15]
	v_mov_b64_e32 v[12:13], v[10:11]
	s_andn2_b64 exec, exec, s[14:15]
	s_cbranch_execnz .LBB5_120
	s_branch .LBB5_38
.LBB5_121:
	s_branch .LBB5_149
.LBB5_122:
                                        ; implicit-def: $vgpr8_vgpr9
	s_cbranch_execz .LBB5_149
; %bb.123:
	v_readfirstlane_b32 s2, v5
	v_mov_b64_e32 v[2:3], 0
	s_nop 0
	v_cmp_eq_u32_e64 s[2:3], s2, v5
	s_and_saveexec_b64 s[8:9], s[2:3]
	s_cbranch_execz .LBB5_129
; %bb.124:
	s_waitcnt vmcnt(0)
	v_mov_b32_e32 v8, 0
	global_load_dwordx2 v[12:13], v8, s[6:7] offset:24 sc0 sc1
	s_waitcnt vmcnt(0)
	buffer_inv sc0 sc1
	global_load_dwordx2 v[2:3], v8, s[6:7] offset:40
	global_load_dwordx2 v[10:11], v8, s[6:7]
	s_waitcnt vmcnt(1)
	v_and_b32_e32 v2, v2, v12
	v_and_b32_e32 v3, v3, v13
	v_mul_lo_u32 v3, v3, 24
	v_mul_hi_u32 v9, v2, 24
	v_add_u32_e32 v3, v9, v3
	v_mul_lo_u32 v2, v2, 24
	s_waitcnt vmcnt(0)
	v_lshl_add_u64 v[2:3], v[10:11], 0, v[2:3]
	global_load_dwordx2 v[10:11], v[2:3], off sc0 sc1
	s_waitcnt vmcnt(0)
	global_atomic_cmpswap_x2 v[2:3], v8, v[10:13], s[6:7] offset:24 sc0 sc1
	s_waitcnt vmcnt(0)
	buffer_inv sc0 sc1
	v_cmp_ne_u64_e32 vcc, v[2:3], v[12:13]
	s_and_saveexec_b64 s[10:11], vcc
	s_cbranch_execz .LBB5_128
; %bb.125:
	s_mov_b64 s[12:13], 0
.LBB5_126:                              ; =>This Inner Loop Header: Depth=1
	s_sleep 1
	global_load_dwordx2 v[10:11], v8, s[6:7] offset:40
	global_load_dwordx2 v[14:15], v8, s[6:7]
	v_mov_b64_e32 v[12:13], v[2:3]
	s_waitcnt vmcnt(1)
	v_and_b32_e32 v2, v10, v12
	s_waitcnt vmcnt(0)
	v_mad_u64_u32 v[2:3], s[14:15], v2, 24, v[14:15]
	v_and_b32_e32 v9, v11, v13
	v_mov_b32_e32 v10, v3
	v_mad_u64_u32 v[10:11], s[14:15], v9, 24, v[10:11]
	v_mov_b32_e32 v3, v10
	global_load_dwordx2 v[10:11], v[2:3], off sc0 sc1
	s_waitcnt vmcnt(0)
	global_atomic_cmpswap_x2 v[2:3], v8, v[10:13], s[6:7] offset:24 sc0 sc1
	s_waitcnt vmcnt(0)
	buffer_inv sc0 sc1
	v_cmp_eq_u64_e32 vcc, v[2:3], v[12:13]
	s_or_b64 s[12:13], vcc, s[12:13]
	s_andn2_b64 exec, exec, s[12:13]
	s_cbranch_execnz .LBB5_126
; %bb.127:
	s_or_b64 exec, exec, s[12:13]
.LBB5_128:
	s_or_b64 exec, exec, s[10:11]
.LBB5_129:
	s_or_b64 exec, exec, s[8:9]
	v_mov_b32_e32 v33, 0
	global_load_dwordx2 v[8:9], v33, s[6:7] offset:40
	global_load_dwordx4 v[10:13], v33, s[6:7]
	v_readfirstlane_b32 s9, v3
	v_readfirstlane_b32 s8, v2
	s_mov_b64 s[10:11], exec
	s_waitcnt vmcnt(1)
	v_readfirstlane_b32 s12, v8
	v_readfirstlane_b32 s13, v9
	s_and_b64 s[12:13], s[12:13], s[8:9]
	s_mul_i32 s14, s13, 24
	s_mul_hi_u32 s15, s12, 24
	s_add_i32 s15, s15, s14
	s_mul_i32 s14, s12, 24
	s_waitcnt vmcnt(0)
	v_lshl_add_u64 v[2:3], v[10:11], 0, s[14:15]
	s_and_saveexec_b64 s[14:15], s[2:3]
	s_cbranch_execz .LBB5_131
; %bb.130:
	v_mov_b64_e32 v[14:15], s[10:11]
	v_mov_b32_e32 v16, 2
	v_mov_b32_e32 v17, 1
	global_store_dwordx4 v[2:3], v[14:17], off offset:8
.LBB5_131:
	s_or_b64 exec, exec, s[14:15]
	s_lshl_b64 s[10:11], s[12:13], 12
	v_lshl_add_u64 v[12:13], v[12:13], 0, s[10:11]
	s_movk_i32 s10, 0xff1f
	s_mov_b32 s12, 0
	v_and_or_b32 v6, v6, s10, 32
	v_mov_b32_e32 v8, v33
	v_mov_b32_e32 v9, v33
	v_readfirstlane_b32 s10, v12
	v_readfirstlane_b32 s11, v13
	s_mov_b32 s13, s12
	s_mov_b32 s14, s12
	;; [unrolled: 1-line block ×3, first 2 shown]
	s_nop 1
	global_store_dwordx4 v32, v[6:9], s[10:11]
	s_nop 1
	v_mov_b64_e32 v[6:7], s[12:13]
	v_mov_b64_e32 v[8:9], s[14:15]
	global_store_dwordx4 v32, v[6:9], s[10:11] offset:16
	global_store_dwordx4 v32, v[6:9], s[10:11] offset:32
	;; [unrolled: 1-line block ×3, first 2 shown]
	s_and_saveexec_b64 s[10:11], s[2:3]
	s_cbranch_execz .LBB5_139
; %bb.132:
	v_mov_b32_e32 v14, 0
	global_load_dwordx2 v[18:19], v14, s[6:7] offset:32 sc0 sc1
	global_load_dwordx2 v[6:7], v14, s[6:7] offset:40
	v_mov_b32_e32 v16, s8
	v_mov_b32_e32 v17, s9
	s_waitcnt vmcnt(0)
	v_readfirstlane_b32 s12, v6
	v_readfirstlane_b32 s13, v7
	s_and_b64 s[12:13], s[12:13], s[8:9]
	s_mul_i32 s13, s13, 24
	s_mul_hi_u32 s14, s12, 24
	s_mul_i32 s12, s12, 24
	s_add_i32 s13, s14, s13
	v_lshl_add_u64 v[10:11], v[10:11], 0, s[12:13]
	global_store_dwordx2 v[10:11], v[18:19], off
	buffer_wbl2 sc0 sc1
	s_waitcnt vmcnt(0)
	global_atomic_cmpswap_x2 v[8:9], v14, v[16:19], s[6:7] offset:32 sc0 sc1
	s_waitcnt vmcnt(0)
	v_cmp_ne_u64_e32 vcc, v[8:9], v[18:19]
	s_and_saveexec_b64 s[12:13], vcc
	s_cbranch_execz .LBB5_135
; %bb.133:
	s_mov_b64 s[14:15], 0
.LBB5_134:                              ; =>This Inner Loop Header: Depth=1
	s_sleep 1
	global_store_dwordx2 v[10:11], v[8:9], off
	v_mov_b32_e32 v6, s8
	v_mov_b32_e32 v7, s9
	buffer_wbl2 sc0 sc1
	s_waitcnt vmcnt(0)
	global_atomic_cmpswap_x2 v[6:7], v14, v[6:9], s[6:7] offset:32 sc0 sc1
	s_waitcnt vmcnt(0)
	v_cmp_eq_u64_e32 vcc, v[6:7], v[8:9]
	s_or_b64 s[14:15], vcc, s[14:15]
	v_mov_b64_e32 v[8:9], v[6:7]
	s_andn2_b64 exec, exec, s[14:15]
	s_cbranch_execnz .LBB5_134
.LBB5_135:
	s_or_b64 exec, exec, s[12:13]
	v_mov_b32_e32 v9, 0
	global_load_dwordx2 v[6:7], v9, s[6:7] offset:16
	s_mov_b64 s[12:13], exec
	v_mbcnt_lo_u32_b32 v8, s12, 0
	v_mbcnt_hi_u32_b32 v8, s13, v8
	v_cmp_eq_u32_e32 vcc, 0, v8
	s_and_saveexec_b64 s[14:15], vcc
	s_cbranch_execz .LBB5_137
; %bb.136:
	s_bcnt1_i32_b64 s12, s[12:13]
	v_mov_b32_e32 v8, s12
	buffer_wbl2 sc0 sc1
	s_waitcnt vmcnt(0)
	global_atomic_add_x2 v[6:7], v[8:9], off offset:8 sc1
.LBB5_137:
	s_or_b64 exec, exec, s[14:15]
	s_waitcnt vmcnt(0)
	global_load_dwordx2 v[8:9], v[6:7], off offset:16
	s_waitcnt vmcnt(0)
	v_cmp_eq_u64_e32 vcc, 0, v[8:9]
	s_cbranch_vccnz .LBB5_139
; %bb.138:
	global_load_dword v6, v[6:7], off offset:24
	v_mov_b32_e32 v7, 0
	s_waitcnt vmcnt(0)
	v_readfirstlane_b32 s12, v6
	s_and_b32 m0, s12, 0xffffff
	buffer_wbl2 sc0 sc1
	global_store_dwordx2 v[8:9], v[6:7], off sc0 sc1
	s_sendmsg sendmsg(MSG_INTERRUPT)
.LBB5_139:
	s_or_b64 exec, exec, s[10:11]
	v_lshl_add_u64 v[6:7], v[12:13], 0, v[32:33]
	s_branch .LBB5_143
.LBB5_140:                              ;   in Loop: Header=BB5_143 Depth=1
	s_or_b64 exec, exec, s[10:11]
	v_readfirstlane_b32 s10, v8
	s_cmp_eq_u32 s10, 0
	s_cbranch_scc1 .LBB5_142
; %bb.141:                              ;   in Loop: Header=BB5_143 Depth=1
	s_sleep 1
	s_cbranch_execnz .LBB5_143
	s_branch .LBB5_145
.LBB5_142:
	s_branch .LBB5_145
.LBB5_143:                              ; =>This Inner Loop Header: Depth=1
	v_mov_b32_e32 v8, 1
	s_and_saveexec_b64 s[10:11], s[2:3]
	s_cbranch_execz .LBB5_140
; %bb.144:                              ;   in Loop: Header=BB5_143 Depth=1
	global_load_dword v8, v[2:3], off offset:20 sc0 sc1
	s_waitcnt vmcnt(0)
	buffer_inv sc0 sc1
	v_and_b32_e32 v8, 1, v8
	s_branch .LBB5_140
.LBB5_145:
	global_load_dwordx2 v[8:9], v[6:7], off
	s_and_saveexec_b64 s[10:11], s[2:3]
	s_cbranch_execz .LBB5_148
; %bb.146:
	v_mov_b32_e32 v6, 0
	global_load_dwordx2 v[2:3], v6, s[6:7] offset:40
	global_load_dwordx2 v[14:15], v6, s[6:7] offset:24 sc0 sc1
	global_load_dwordx2 v[10:11], v6, s[6:7]
	s_waitcnt vmcnt(2)
	v_readfirstlane_b32 s12, v2
	v_readfirstlane_b32 s13, v3
	s_add_u32 s14, s12, 1
	s_addc_u32 s15, s13, 0
	s_add_u32 s2, s14, s8
	s_addc_u32 s3, s15, s9
	s_cmp_eq_u64 s[2:3], 0
	s_cselect_b32 s3, s15, s3
	s_cselect_b32 s2, s14, s2
	s_and_b64 s[8:9], s[2:3], s[12:13]
	s_mul_i32 s9, s9, 24
	s_mul_hi_u32 s12, s8, 24
	s_mul_i32 s8, s8, 24
	s_add_i32 s9, s12, s9
	s_waitcnt vmcnt(0)
	v_lshl_add_u64 v[2:3], v[10:11], 0, s[8:9]
	v_mov_b32_e32 v12, s2
	global_store_dwordx2 v[2:3], v[14:15], off
	v_mov_b32_e32 v13, s3
	buffer_wbl2 sc0 sc1
	s_waitcnt vmcnt(0)
	global_atomic_cmpswap_x2 v[12:13], v6, v[12:15], s[6:7] offset:24 sc0 sc1
	s_mov_b64 s[8:9], 0
	s_waitcnt vmcnt(0)
	v_cmp_ne_u64_e32 vcc, v[12:13], v[14:15]
	s_and_b64 exec, exec, vcc
	s_cbranch_execz .LBB5_148
.LBB5_147:                              ; =>This Inner Loop Header: Depth=1
	s_sleep 1
	global_store_dwordx2 v[2:3], v[12:13], off
	v_mov_b32_e32 v10, s2
	v_mov_b32_e32 v11, s3
	buffer_wbl2 sc0 sc1
	s_waitcnt vmcnt(0)
	global_atomic_cmpswap_x2 v[10:11], v6, v[10:13], s[6:7] offset:24 sc0 sc1
	s_waitcnt vmcnt(0)
	v_cmp_eq_u64_e32 vcc, v[10:11], v[12:13]
	s_or_b64 s[8:9], vcc, s[8:9]
	v_mov_b64_e32 v[12:13], v[10:11]
	s_andn2_b64 exec, exec, s[8:9]
	s_cbranch_execnz .LBB5_147
.LBB5_148:
	s_or_b64 exec, exec, s[10:11]
.LBB5_149:
	v_readfirstlane_b32 s2, v5
	v_mov_b64_e32 v[2:3], 0
	s_nop 0
	v_cmp_eq_u32_e64 s[2:3], s2, v5
	s_and_saveexec_b64 s[8:9], s[2:3]
	s_cbranch_execz .LBB5_155
; %bb.150:
	s_waitcnt vmcnt(0)
	v_mov_b32_e32 v6, 0
	global_load_dwordx2 v[12:13], v6, s[6:7] offset:24 sc0 sc1
	s_waitcnt vmcnt(0)
	buffer_inv sc0 sc1
	global_load_dwordx2 v[2:3], v6, s[6:7] offset:40
	global_load_dwordx2 v[10:11], v6, s[6:7]
	s_waitcnt vmcnt(1)
	v_and_b32_e32 v2, v2, v12
	v_and_b32_e32 v3, v3, v13
	v_mul_lo_u32 v3, v3, 24
	v_mul_hi_u32 v7, v2, 24
	v_add_u32_e32 v3, v7, v3
	v_mul_lo_u32 v2, v2, 24
	s_waitcnt vmcnt(0)
	v_lshl_add_u64 v[2:3], v[10:11], 0, v[2:3]
	global_load_dwordx2 v[10:11], v[2:3], off sc0 sc1
	s_waitcnt vmcnt(0)
	global_atomic_cmpswap_x2 v[2:3], v6, v[10:13], s[6:7] offset:24 sc0 sc1
	s_waitcnt vmcnt(0)
	buffer_inv sc0 sc1
	v_cmp_ne_u64_e32 vcc, v[2:3], v[12:13]
	s_and_saveexec_b64 s[10:11], vcc
	s_cbranch_execz .LBB5_154
; %bb.151:
	s_mov_b64 s[12:13], 0
.LBB5_152:                              ; =>This Inner Loop Header: Depth=1
	s_sleep 1
	global_load_dwordx2 v[10:11], v6, s[6:7] offset:40
	global_load_dwordx2 v[14:15], v6, s[6:7]
	v_mov_b64_e32 v[12:13], v[2:3]
	s_waitcnt vmcnt(1)
	v_and_b32_e32 v2, v10, v12
	s_waitcnt vmcnt(0)
	v_mad_u64_u32 v[2:3], s[14:15], v2, 24, v[14:15]
	v_and_b32_e32 v7, v11, v13
	v_mov_b32_e32 v10, v3
	v_mad_u64_u32 v[10:11], s[14:15], v7, 24, v[10:11]
	v_mov_b32_e32 v3, v10
	global_load_dwordx2 v[10:11], v[2:3], off sc0 sc1
	s_waitcnt vmcnt(0)
	global_atomic_cmpswap_x2 v[2:3], v6, v[10:13], s[6:7] offset:24 sc0 sc1
	s_waitcnt vmcnt(0)
	buffer_inv sc0 sc1
	v_cmp_eq_u64_e32 vcc, v[2:3], v[12:13]
	s_or_b64 s[12:13], vcc, s[12:13]
	s_andn2_b64 exec, exec, s[12:13]
	s_cbranch_execnz .LBB5_152
; %bb.153:
	s_or_b64 exec, exec, s[12:13]
.LBB5_154:
	s_or_b64 exec, exec, s[10:11]
.LBB5_155:
	s_or_b64 exec, exec, s[8:9]
	v_mov_b32_e32 v33, 0
	global_load_dwordx2 v[6:7], v33, s[6:7] offset:40
	global_load_dwordx4 v[12:15], v33, s[6:7]
	v_readfirstlane_b32 s9, v3
	v_readfirstlane_b32 s8, v2
	s_mov_b64 s[10:11], exec
	s_waitcnt vmcnt(1)
	v_readfirstlane_b32 s12, v6
	v_readfirstlane_b32 s13, v7
	s_and_b64 s[12:13], s[12:13], s[8:9]
	s_mul_i32 s14, s13, 24
	s_mul_hi_u32 s15, s12, 24
	s_add_i32 s15, s15, s14
	s_mul_i32 s14, s12, 24
	s_waitcnt vmcnt(0)
	v_lshl_add_u64 v[2:3], v[12:13], 0, s[14:15]
	s_and_saveexec_b64 s[14:15], s[2:3]
	s_cbranch_execz .LBB5_157
; %bb.156:
	v_mov_b64_e32 v[16:17], s[10:11]
	v_mov_b32_e32 v18, 2
	v_mov_b32_e32 v19, 1
	global_store_dwordx4 v[2:3], v[16:19], off offset:8
.LBB5_157:
	s_or_b64 exec, exec, s[14:15]
	s_lshl_b64 s[10:11], s[12:13], 12
	v_lshl_add_u64 v[14:15], v[14:15], 0, s[10:11]
	s_movk_i32 s10, 0xff1f
	s_mov_b32 s12, 0
	v_and_or_b32 v8, v8, s10, 32
	v_mov_b32_e32 v10, v39
	v_mov_b32_e32 v11, v33
	v_readfirstlane_b32 s10, v14
	v_readfirstlane_b32 s11, v15
	s_mov_b32 s13, s12
	s_mov_b32 s14, s12
	;; [unrolled: 1-line block ×3, first 2 shown]
	s_nop 1
	global_store_dwordx4 v32, v[8:11], s[10:11]
	v_mov_b64_e32 v[6:7], s[12:13]
	s_nop 0
	v_mov_b64_e32 v[8:9], s[14:15]
	global_store_dwordx4 v32, v[6:9], s[10:11] offset:16
	global_store_dwordx4 v32, v[6:9], s[10:11] offset:32
	;; [unrolled: 1-line block ×3, first 2 shown]
	s_and_saveexec_b64 s[10:11], s[2:3]
	s_cbranch_execz .LBB5_165
; %bb.158:
	v_mov_b32_e32 v16, 0
	global_load_dwordx2 v[20:21], v16, s[6:7] offset:32 sc0 sc1
	global_load_dwordx2 v[6:7], v16, s[6:7] offset:40
	v_mov_b32_e32 v18, s8
	v_mov_b32_e32 v19, s9
	s_waitcnt vmcnt(0)
	v_readfirstlane_b32 s12, v6
	v_readfirstlane_b32 s13, v7
	s_and_b64 s[12:13], s[12:13], s[8:9]
	s_mul_i32 s13, s13, 24
	s_mul_hi_u32 s14, s12, 24
	s_mul_i32 s12, s12, 24
	s_add_i32 s13, s14, s13
	v_lshl_add_u64 v[10:11], v[12:13], 0, s[12:13]
	global_store_dwordx2 v[10:11], v[20:21], off
	buffer_wbl2 sc0 sc1
	s_waitcnt vmcnt(0)
	global_atomic_cmpswap_x2 v[8:9], v16, v[18:21], s[6:7] offset:32 sc0 sc1
	s_waitcnt vmcnt(0)
	v_cmp_ne_u64_e32 vcc, v[8:9], v[20:21]
	s_and_saveexec_b64 s[12:13], vcc
	s_cbranch_execz .LBB5_161
; %bb.159:
	s_mov_b64 s[14:15], 0
.LBB5_160:                              ; =>This Inner Loop Header: Depth=1
	s_sleep 1
	global_store_dwordx2 v[10:11], v[8:9], off
	v_mov_b32_e32 v6, s8
	v_mov_b32_e32 v7, s9
	buffer_wbl2 sc0 sc1
	s_waitcnt vmcnt(0)
	global_atomic_cmpswap_x2 v[6:7], v16, v[6:9], s[6:7] offset:32 sc0 sc1
	s_waitcnt vmcnt(0)
	v_cmp_eq_u64_e32 vcc, v[6:7], v[8:9]
	s_or_b64 s[14:15], vcc, s[14:15]
	v_mov_b64_e32 v[8:9], v[6:7]
	s_andn2_b64 exec, exec, s[14:15]
	s_cbranch_execnz .LBB5_160
.LBB5_161:
	s_or_b64 exec, exec, s[12:13]
	v_mov_b32_e32 v9, 0
	global_load_dwordx2 v[6:7], v9, s[6:7] offset:16
	s_mov_b64 s[12:13], exec
	v_mbcnt_lo_u32_b32 v8, s12, 0
	v_mbcnt_hi_u32_b32 v8, s13, v8
	v_cmp_eq_u32_e32 vcc, 0, v8
	s_and_saveexec_b64 s[14:15], vcc
	s_cbranch_execz .LBB5_163
; %bb.162:
	s_bcnt1_i32_b64 s12, s[12:13]
	v_mov_b32_e32 v8, s12
	buffer_wbl2 sc0 sc1
	s_waitcnt vmcnt(0)
	global_atomic_add_x2 v[6:7], v[8:9], off offset:8 sc1
.LBB5_163:
	s_or_b64 exec, exec, s[14:15]
	s_waitcnt vmcnt(0)
	global_load_dwordx2 v[8:9], v[6:7], off offset:16
	s_waitcnt vmcnt(0)
	v_cmp_eq_u64_e32 vcc, 0, v[8:9]
	s_cbranch_vccnz .LBB5_165
; %bb.164:
	global_load_dword v6, v[6:7], off offset:24
	v_mov_b32_e32 v7, 0
	s_waitcnt vmcnt(0)
	v_readfirstlane_b32 s12, v6
	s_and_b32 m0, s12, 0xffffff
	buffer_wbl2 sc0 sc1
	global_store_dwordx2 v[8:9], v[6:7], off sc0 sc1
	s_sendmsg sendmsg(MSG_INTERRUPT)
.LBB5_165:
	s_or_b64 exec, exec, s[10:11]
	v_lshl_add_u64 v[6:7], v[14:15], 0, v[32:33]
	s_branch .LBB5_169
.LBB5_166:                              ;   in Loop: Header=BB5_169 Depth=1
	s_or_b64 exec, exec, s[10:11]
	v_readfirstlane_b32 s10, v8
	s_cmp_eq_u32 s10, 0
	s_cbranch_scc1 .LBB5_168
; %bb.167:                              ;   in Loop: Header=BB5_169 Depth=1
	s_sleep 1
	s_cbranch_execnz .LBB5_169
	s_branch .LBB5_171
.LBB5_168:
	s_branch .LBB5_171
.LBB5_169:                              ; =>This Inner Loop Header: Depth=1
	v_mov_b32_e32 v8, 1
	s_and_saveexec_b64 s[10:11], s[2:3]
	s_cbranch_execz .LBB5_166
; %bb.170:                              ;   in Loop: Header=BB5_169 Depth=1
	global_load_dword v8, v[2:3], off offset:20 sc0 sc1
	s_waitcnt vmcnt(0)
	buffer_inv sc0 sc1
	v_and_b32_e32 v8, 1, v8
	s_branch .LBB5_166
.LBB5_171:
	global_load_dwordx2 v[2:3], v[6:7], off
	s_and_saveexec_b64 s[10:11], s[2:3]
	s_cbranch_execz .LBB5_174
; %bb.172:
	v_mov_b32_e32 v12, 0
	global_load_dwordx2 v[6:7], v12, s[6:7] offset:40
	global_load_dwordx2 v[16:17], v12, s[6:7] offset:24 sc0 sc1
	global_load_dwordx2 v[8:9], v12, s[6:7]
	s_waitcnt vmcnt(2)
	v_readfirstlane_b32 s12, v6
	v_readfirstlane_b32 s13, v7
	s_add_u32 s14, s12, 1
	s_addc_u32 s15, s13, 0
	s_add_u32 s2, s14, s8
	s_addc_u32 s3, s15, s9
	s_cmp_eq_u64 s[2:3], 0
	s_cselect_b32 s3, s15, s3
	s_cselect_b32 s2, s14, s2
	s_and_b64 s[8:9], s[2:3], s[12:13]
	s_mul_i32 s9, s9, 24
	s_mul_hi_u32 s12, s8, 24
	s_mul_i32 s8, s8, 24
	s_add_i32 s9, s12, s9
	s_waitcnt vmcnt(0)
	v_lshl_add_u64 v[10:11], v[8:9], 0, s[8:9]
	v_mov_b32_e32 v14, s2
	global_store_dwordx2 v[10:11], v[16:17], off
	v_mov_b32_e32 v15, s3
	buffer_wbl2 sc0 sc1
	s_waitcnt vmcnt(0)
	global_atomic_cmpswap_x2 v[8:9], v12, v[14:17], s[6:7] offset:24 sc0 sc1
	s_mov_b64 s[8:9], 0
	s_waitcnt vmcnt(0)
	v_cmp_ne_u64_e32 vcc, v[8:9], v[16:17]
	s_and_b64 exec, exec, vcc
	s_cbranch_execz .LBB5_174
.LBB5_173:                              ; =>This Inner Loop Header: Depth=1
	s_sleep 1
	global_store_dwordx2 v[10:11], v[8:9], off
	v_mov_b32_e32 v6, s2
	v_mov_b32_e32 v7, s3
	buffer_wbl2 sc0 sc1
	s_waitcnt vmcnt(0)
	global_atomic_cmpswap_x2 v[6:7], v12, v[6:9], s[6:7] offset:24 sc0 sc1
	s_waitcnt vmcnt(0)
	v_cmp_eq_u64_e32 vcc, v[6:7], v[8:9]
	s_or_b64 s[8:9], vcc, s[8:9]
	v_mov_b64_e32 v[8:9], v[6:7]
	s_andn2_b64 exec, exec, s[8:9]
	s_cbranch_execnz .LBB5_173
.LBB5_174:
	s_or_b64 exec, exec, s[10:11]
	v_readfirstlane_b32 s2, v5
	v_mov_b64_e32 v[10:11], 0
	s_nop 0
	v_cmp_eq_u32_e64 s[2:3], s2, v5
	s_and_saveexec_b64 s[8:9], s[2:3]
	s_cbranch_execz .LBB5_180
; %bb.175:
	v_mov_b32_e32 v5, 0
	global_load_dwordx2 v[8:9], v5, s[6:7] offset:24 sc0 sc1
	s_waitcnt vmcnt(0)
	buffer_inv sc0 sc1
	global_load_dwordx2 v[6:7], v5, s[6:7] offset:40
	global_load_dwordx2 v[10:11], v5, s[6:7]
	s_waitcnt vmcnt(1)
	v_and_b32_e32 v6, v6, v8
	v_and_b32_e32 v7, v7, v9
	v_mul_lo_u32 v7, v7, 24
	v_mul_hi_u32 v12, v6, 24
	v_add_u32_e32 v7, v12, v7
	v_mul_lo_u32 v6, v6, 24
	s_waitcnt vmcnt(0)
	v_lshl_add_u64 v[6:7], v[10:11], 0, v[6:7]
	global_load_dwordx2 v[6:7], v[6:7], off sc0 sc1
	s_waitcnt vmcnt(0)
	global_atomic_cmpswap_x2 v[10:11], v5, v[6:9], s[6:7] offset:24 sc0 sc1
	s_waitcnt vmcnt(0)
	buffer_inv sc0 sc1
	v_cmp_ne_u64_e32 vcc, v[10:11], v[8:9]
	s_and_saveexec_b64 s[10:11], vcc
	s_cbranch_execz .LBB5_179
; %bb.176:
	s_mov_b64 s[12:13], 0
.LBB5_177:                              ; =>This Inner Loop Header: Depth=1
	s_sleep 1
	global_load_dwordx2 v[6:7], v5, s[6:7] offset:40
	global_load_dwordx2 v[12:13], v5, s[6:7]
	v_mov_b64_e32 v[8:9], v[10:11]
	s_waitcnt vmcnt(1)
	v_and_b32_e32 v6, v6, v8
	v_and_b32_e32 v11, v7, v9
	s_waitcnt vmcnt(0)
	v_mad_u64_u32 v[6:7], s[14:15], v6, 24, v[12:13]
	v_mov_b32_e32 v10, v7
	v_mad_u64_u32 v[10:11], s[14:15], v11, 24, v[10:11]
	v_mov_b32_e32 v7, v10
	global_load_dwordx2 v[6:7], v[6:7], off sc0 sc1
	s_waitcnt vmcnt(0)
	global_atomic_cmpswap_x2 v[10:11], v5, v[6:9], s[6:7] offset:24 sc0 sc1
	s_waitcnt vmcnt(0)
	buffer_inv sc0 sc1
	v_cmp_eq_u64_e32 vcc, v[10:11], v[8:9]
	s_or_b64 s[12:13], vcc, s[12:13]
	s_andn2_b64 exec, exec, s[12:13]
	s_cbranch_execnz .LBB5_177
; %bb.178:
	s_or_b64 exec, exec, s[12:13]
.LBB5_179:
	s_or_b64 exec, exec, s[10:11]
.LBB5_180:
	s_or_b64 exec, exec, s[8:9]
	v_mov_b32_e32 v5, 0
	global_load_dwordx2 v[12:13], v5, s[6:7] offset:40
	global_load_dwordx4 v[6:9], v5, s[6:7]
	v_readfirstlane_b32 s9, v11
	v_readfirstlane_b32 s8, v10
	s_mov_b64 s[10:11], exec
	s_waitcnt vmcnt(1)
	v_readfirstlane_b32 s12, v12
	v_readfirstlane_b32 s13, v13
	s_and_b64 s[12:13], s[12:13], s[8:9]
	s_mul_i32 s14, s13, 24
	s_mul_hi_u32 s15, s12, 24
	s_add_i32 s15, s15, s14
	s_mul_i32 s14, s12, 24
	s_waitcnt vmcnt(0)
	v_lshl_add_u64 v[10:11], v[6:7], 0, s[14:15]
	s_and_saveexec_b64 s[14:15], s[2:3]
	s_cbranch_execz .LBB5_182
; %bb.181:
	v_mov_b64_e32 v[12:13], s[10:11]
	v_mov_b32_e32 v14, 2
	v_mov_b32_e32 v15, 1
	global_store_dwordx4 v[10:11], v[12:15], off offset:8
.LBB5_182:
	s_or_b64 exec, exec, s[14:15]
	s_lshl_b64 s[10:11], s[12:13], 12
	v_lshl_add_u64 v[8:9], v[8:9], 0, s[10:11]
	s_movk_i32 s10, 0xff1d
	s_mov_b32 s12, 0
	v_and_or_b32 v2, v2, s10, 34
	v_readfirstlane_b32 s10, v8
	v_readfirstlane_b32 s11, v9
	s_mov_b32 s13, s12
	s_mov_b32 s14, s12
	;; [unrolled: 1-line block ×3, first 2 shown]
	s_nop 1
	global_store_dwordx4 v32, v[2:5], s[10:11]
	s_nop 1
	v_mov_b64_e32 v[2:3], s[12:13]
	v_mov_b64_e32 v[4:5], s[14:15]
	global_store_dwordx4 v32, v[2:5], s[10:11] offset:16
	global_store_dwordx4 v32, v[2:5], s[10:11] offset:32
	;; [unrolled: 1-line block ×3, first 2 shown]
	s_and_saveexec_b64 s[10:11], s[2:3]
	s_cbranch_execz .LBB5_190
; %bb.183:
	v_mov_b32_e32 v8, 0
	global_load_dwordx2 v[14:15], v8, s[6:7] offset:32 sc0 sc1
	global_load_dwordx2 v[2:3], v8, s[6:7] offset:40
	v_mov_b32_e32 v12, s8
	v_mov_b32_e32 v13, s9
	s_waitcnt vmcnt(0)
	v_readfirstlane_b32 s12, v2
	v_readfirstlane_b32 s13, v3
	s_and_b64 s[12:13], s[12:13], s[8:9]
	s_mul_i32 s13, s13, 24
	s_mul_hi_u32 s14, s12, 24
	s_mul_i32 s12, s12, 24
	s_add_i32 s13, s14, s13
	v_lshl_add_u64 v[6:7], v[6:7], 0, s[12:13]
	global_store_dwordx2 v[6:7], v[14:15], off
	buffer_wbl2 sc0 sc1
	s_waitcnt vmcnt(0)
	global_atomic_cmpswap_x2 v[4:5], v8, v[12:15], s[6:7] offset:32 sc0 sc1
	s_waitcnt vmcnt(0)
	v_cmp_ne_u64_e32 vcc, v[4:5], v[14:15]
	s_and_saveexec_b64 s[12:13], vcc
	s_cbranch_execz .LBB5_186
; %bb.184:
	s_mov_b64 s[14:15], 0
.LBB5_185:                              ; =>This Inner Loop Header: Depth=1
	s_sleep 1
	global_store_dwordx2 v[6:7], v[4:5], off
	v_mov_b32_e32 v2, s8
	v_mov_b32_e32 v3, s9
	buffer_wbl2 sc0 sc1
	s_waitcnt vmcnt(0)
	global_atomic_cmpswap_x2 v[2:3], v8, v[2:5], s[6:7] offset:32 sc0 sc1
	s_waitcnt vmcnt(0)
	v_cmp_eq_u64_e32 vcc, v[2:3], v[4:5]
	s_or_b64 s[14:15], vcc, s[14:15]
	v_mov_b64_e32 v[4:5], v[2:3]
	s_andn2_b64 exec, exec, s[14:15]
	s_cbranch_execnz .LBB5_185
.LBB5_186:
	s_or_b64 exec, exec, s[12:13]
	v_mov_b32_e32 v5, 0
	global_load_dwordx2 v[2:3], v5, s[6:7] offset:16
	s_mov_b64 s[12:13], exec
	v_mbcnt_lo_u32_b32 v4, s12, 0
	v_mbcnt_hi_u32_b32 v4, s13, v4
	v_cmp_eq_u32_e32 vcc, 0, v4
	s_and_saveexec_b64 s[14:15], vcc
	s_cbranch_execz .LBB5_188
; %bb.187:
	s_bcnt1_i32_b64 s12, s[12:13]
	v_mov_b32_e32 v4, s12
	buffer_wbl2 sc0 sc1
	s_waitcnt vmcnt(0)
	global_atomic_add_x2 v[2:3], v[4:5], off offset:8 sc1
.LBB5_188:
	s_or_b64 exec, exec, s[14:15]
	s_waitcnt vmcnt(0)
	global_load_dwordx2 v[4:5], v[2:3], off offset:16
	s_waitcnt vmcnt(0)
	v_cmp_eq_u64_e32 vcc, 0, v[4:5]
	s_cbranch_vccnz .LBB5_190
; %bb.189:
	global_load_dword v2, v[2:3], off offset:24
	v_mov_b32_e32 v3, 0
	s_waitcnt vmcnt(0)
	v_readfirstlane_b32 s12, v2
	s_and_b32 m0, s12, 0xffffff
	buffer_wbl2 sc0 sc1
	global_store_dwordx2 v[4:5], v[2:3], off sc0 sc1
	s_sendmsg sendmsg(MSG_INTERRUPT)
.LBB5_190:
	s_or_b64 exec, exec, s[10:11]
	s_branch .LBB5_194
.LBB5_191:                              ;   in Loop: Header=BB5_194 Depth=1
	s_or_b64 exec, exec, s[10:11]
	v_readfirstlane_b32 s10, v2
	s_cmp_eq_u32 s10, 0
	s_cbranch_scc1 .LBB5_193
; %bb.192:                              ;   in Loop: Header=BB5_194 Depth=1
	s_sleep 1
	s_cbranch_execnz .LBB5_194
	s_branch .LBB5_196
.LBB5_193:
	s_branch .LBB5_196
.LBB5_194:                              ; =>This Inner Loop Header: Depth=1
	v_mov_b32_e32 v2, 1
	s_and_saveexec_b64 s[10:11], s[2:3]
	s_cbranch_execz .LBB5_191
; %bb.195:                              ;   in Loop: Header=BB5_194 Depth=1
	global_load_dword v2, v[10:11], off offset:20 sc0 sc1
	s_waitcnt vmcnt(0)
	buffer_inv sc0 sc1
	v_and_b32_e32 v2, 1, v2
	s_branch .LBB5_191
.LBB5_196:
	s_and_b64 exec, exec, s[2:3]
	s_cbranch_execz .LBB5_199
; %bb.197:
	v_mov_b32_e32 v8, 0
	global_load_dwordx2 v[2:3], v8, s[6:7] offset:40
	global_load_dwordx2 v[12:13], v8, s[6:7] offset:24 sc0 sc1
	global_load_dwordx2 v[4:5], v8, s[6:7]
	s_waitcnt vmcnt(2)
	v_readfirstlane_b32 s10, v2
	v_readfirstlane_b32 s11, v3
	s_add_u32 s12, s10, 1
	s_addc_u32 s13, s11, 0
	s_add_u32 s2, s12, s8
	s_addc_u32 s3, s13, s9
	s_cmp_eq_u64 s[2:3], 0
	s_cselect_b32 s3, s13, s3
	s_cselect_b32 s2, s12, s2
	s_and_b64 s[8:9], s[2:3], s[10:11]
	s_mul_i32 s9, s9, 24
	s_mul_hi_u32 s10, s8, 24
	s_mul_i32 s8, s8, 24
	s_add_i32 s9, s10, s9
	s_waitcnt vmcnt(0)
	v_lshl_add_u64 v[6:7], v[4:5], 0, s[8:9]
	v_mov_b32_e32 v10, s2
	global_store_dwordx2 v[6:7], v[12:13], off
	v_mov_b32_e32 v11, s3
	buffer_wbl2 sc0 sc1
	s_waitcnt vmcnt(0)
	global_atomic_cmpswap_x2 v[4:5], v8, v[10:13], s[6:7] offset:24 sc0 sc1
	s_mov_b64 s[8:9], 0
	s_waitcnt vmcnt(0)
	v_cmp_ne_u64_e32 vcc, v[4:5], v[12:13]
	s_and_b64 exec, exec, vcc
	s_cbranch_execz .LBB5_199
.LBB5_198:                              ; =>This Inner Loop Header: Depth=1
	s_sleep 1
	global_store_dwordx2 v[6:7], v[4:5], off
	v_mov_b32_e32 v2, s2
	v_mov_b32_e32 v3, s3
	buffer_wbl2 sc0 sc1
	s_waitcnt vmcnt(0)
	global_atomic_cmpswap_x2 v[2:3], v8, v[2:5], s[6:7] offset:24 sc0 sc1
	s_waitcnt vmcnt(0)
	v_cmp_eq_u64_e32 vcc, v[2:3], v[4:5]
	s_or_b64 s[8:9], vcc, s[8:9]
	v_mov_b64_e32 v[4:5], v[2:3]
	s_andn2_b64 exec, exec, s[8:9]
	s_cbranch_execnz .LBB5_198
.LBB5_199:
	s_or_b64 exec, exec, s[4:5]
	v_or_b32_e32 v0, v0, v44
	v_cmp_lt_i32_e32 vcc, -1, v0
	s_xor_b64 s[0:1], s[0:1], -1
	s_and_b64 s[0:1], vcc, s[0:1]
                                        ; implicit-def: $vgpr53
	s_and_saveexec_b64 s[2:3], s[0:1]
	s_xor_b64 s[0:1], exec, s[2:3]
	s_cbranch_execz .LBB5_201
; %bb.200:
	flat_load_dword v2, v[40:41]
	v_lshl_or_b32 v0, v38, 1, 1
	s_waitcnt vmcnt(0) lgkmcnt(0)
	v_ashrrev_i32_e32 v3, 31, v2
	v_add_u32_e32 v4, 1, v2
	flat_store_dword v[40:41], v4
	v_lshl_add_u64 v[4:5], v[2:3], 3, v[40:41]
	flat_store_dwordx2 v[4:5], v[0:1] offset:8
	v_lshl_or_b32 v53, v2, 1, 1
.LBB5_201:
	s_or_saveexec_b64 s[26:27], s[0:1]
	s_mov_b64 s[0:1], s[22:23]
	s_xor_b64 exec, exec, s[26:27]
	s_cbranch_execz .LBB5_203
; %bb.202:
	s_getpc_b64 s[0:1]
	s_add_u32 s0, s0, .str.46@rel32@lo+4
	s_addc_u32 s1, s1, .str.46@rel32@hi+12
	s_getpc_b64 s[2:3]
	s_add_u32 s2, s2, .str.44@rel32@lo+4
	s_addc_u32 s3, s3, .str.44@rel32@hi+12
	s_getpc_b64 s[4:5]
	s_add_u32 s4, s4, __PRETTY_FUNCTION__._ZN8subgUtil18formAndNodeKeyFlagEiii@rel32@lo+4
	s_addc_u32 s5, s5, __PRETTY_FUNCTION__._ZN8subgUtil18formAndNodeKeyFlagEiii@rel32@hi+12
	s_getpc_b64 s[6:7]
	s_add_u32 s6, s6, __assert_fail@rel32@lo+4
	s_addc_u32 s7, s7, __assert_fail@rel32@hi+12
	s_mov_b64 s[8:9], s[34:35]
	v_mov_b32_e32 v0, s0
	v_mov_b32_e32 v1, s1
	;; [unrolled: 1-line block ×7, first 2 shown]
	s_swappc_b64 s[30:31], s[6:7]
	s_or_b64 s[0:1], s[22:23], exec
.LBB5_203:
	s_or_b64 exec, exec, s[26:27]
	s_andn2_b64 s[2:3], s[22:23], exec
	s_and_b64 s[0:1], s[0:1], exec
	s_or_b64 s[22:23], s[2:3], s[0:1]
	s_or_b64 exec, exec, s[24:25]
	s_and_saveexec_b64 s[0:1], s[22:23]
	s_cbranch_execnz .LBB5_4
	s_branch .LBB5_5
.Lfunc_end5:
	.size	_ZN3sop19sopFactorTrivialRecEPjiiPN8subgUtil4SubgILi256EEE, .Lfunc_end5-_ZN3sop19sopFactorTrivialRecEPjiiPN8subgUtil4SubgILi256EEE
                                        ; -- End function
	.set .L_ZN3sop19sopFactorTrivialRecEPjiiPN8subgUtil4SubgILi256EEE.num_vgpr, max(58, .L_ZN3sop23sopFactorTrivialCubeRecEjiiPN8subgUtil4SubgILi256EEE.num_vgpr, .L__assert_fail.num_vgpr)
	.set .L_ZN3sop19sopFactorTrivialRecEPjiiPN8subgUtil4SubgILi256EEE.num_agpr, max(0, .L_ZN3sop23sopFactorTrivialCubeRecEjiiPN8subgUtil4SubgILi256EEE.num_agpr, .L__assert_fail.num_agpr)
	.set .L_ZN3sop19sopFactorTrivialRecEPjiiPN8subgUtil4SubgILi256EEE.numbered_sgpr, max(56, .L_ZN3sop23sopFactorTrivialCubeRecEjiiPN8subgUtil4SubgILi256EEE.numbered_sgpr, .L__assert_fail.numbered_sgpr)
	.set .L_ZN3sop19sopFactorTrivialRecEPjiiPN8subgUtil4SubgILi256EEE.num_named_barrier, max(0, .L_ZN3sop23sopFactorTrivialCubeRecEjiiPN8subgUtil4SubgILi256EEE.num_named_barrier, .L__assert_fail.num_named_barrier)
	.set .L_ZN3sop19sopFactorTrivialRecEPjiiPN8subgUtil4SubgILi256EEE.private_seg_size, 48+max(.L_ZN3sop23sopFactorTrivialCubeRecEjiiPN8subgUtil4SubgILi256EEE.private_seg_size, .L__assert_fail.private_seg_size)
	.set .L_ZN3sop19sopFactorTrivialRecEPjiiPN8subgUtil4SubgILi256EEE.uses_vcc, or(1, .L_ZN3sop23sopFactorTrivialCubeRecEjiiPN8subgUtil4SubgILi256EEE.uses_vcc, .L__assert_fail.uses_vcc)
	.set .L_ZN3sop19sopFactorTrivialRecEPjiiPN8subgUtil4SubgILi256EEE.uses_flat_scratch, or(0, .L_ZN3sop23sopFactorTrivialCubeRecEjiiPN8subgUtil4SubgILi256EEE.uses_flat_scratch, .L__assert_fail.uses_flat_scratch)
	.set .L_ZN3sop19sopFactorTrivialRecEPjiiPN8subgUtil4SubgILi256EEE.has_dyn_sized_stack, or(0, .L_ZN3sop23sopFactorTrivialCubeRecEjiiPN8subgUtil4SubgILi256EEE.has_dyn_sized_stack, .L__assert_fail.has_dyn_sized_stack)
	.set .L_ZN3sop19sopFactorTrivialRecEPjiiPN8subgUtil4SubgILi256EEE.has_recursion, or(1, .L_ZN3sop23sopFactorTrivialCubeRecEjiiPN8subgUtil4SubgILi256EEE.has_recursion, .L__assert_fail.has_recursion)
	.set .L_ZN3sop19sopFactorTrivialRecEPjiiPN8subgUtil4SubgILi256EEE.has_indirect_call, or(0, .L_ZN3sop23sopFactorTrivialCubeRecEjiiPN8subgUtil4SubgILi256EEE.has_indirect_call, .L__assert_fail.has_indirect_call)
	.section	.AMDGPU.csdata,"",@progbits
; Function info:
; codeLenInByte = 8140
; TotalNumSgprs: 62
; NumVgprs: 58
; NumAgprs: 0
; TotalNumVgprs: 58
; ScratchSize: 144
; MemoryBound: 0
	.text
	.p2align	2                               ; -- Begin function _ZN3sop12sopFactorRecEPNS_3SopEiP7VecsMemIjLi8192EEPN8subgUtil4SubgILi256EEE
	.type	_ZN3sop12sopFactorRecEPNS_3SopEiP7VecsMemIjLi8192EEPN8subgUtil4SubgILi256EEE,@function
_ZN3sop12sopFactorRecEPNS_3SopEiP7VecsMemIjLi8192EEPN8subgUtil4SubgILi256EEE: ; @_ZN3sop12sopFactorRecEPNS_3SopEiP7VecsMemIjLi8192EEPN8subgUtil4SubgILi256EEE
; %bb.0:
	s_waitcnt vmcnt(0) expcnt(0) lgkmcnt(0)
	s_mov_b32 s0, s33
	s_mov_b32 s33, s32
	s_or_saveexec_b64 s[2:3], -1
	scratch_store_dword off, v45, s33 offset:152 ; 4-byte Folded Spill
	scratch_store_dword off, v47, s33 offset:156 ; 4-byte Folded Spill
	s_mov_b64 exec, s[2:3]
	v_writelane_b32 v45, s0, 34
	s_addk_i32 s32, 0xb0
	scratch_store_dword off, v40, s33 offset:36 ; 4-byte Folded Spill
	scratch_store_dword off, v41, s33 offset:32 ; 4-byte Folded Spill
	;; [unrolled: 1-line block ×9, first 2 shown]
	scratch_store_dword off, v59, s33       ; 4-byte Folded Spill
	v_writelane_b32 v45, s34, 0
	v_writelane_b32 v45, s35, 1
	;; [unrolled: 1-line block ×33, first 2 shown]
	s_nop 1
	v_writelane_b32 v45, s31, 33
	v_mov_b32_e32 v55, v1
	v_mov_b32_e32 v54, v0
	flat_load_dword v0, v[54:55] offset:4
	v_mov_b32_e32 v43, v6
	v_mov_b32_e32 v42, v5
	;; [unrolled: 1-line block ×5, first 2 shown]
	s_mov_b64 s[64:65], s[8:9]
	s_mov_b64 s[66:67], 0
	s_waitcnt vmcnt(0) lgkmcnt(0)
	v_cmp_gt_i32_e32 vcc, 1, v0
	s_and_saveexec_b64 s[0:1], vcc
	s_xor_b64 s[22:23], exec, s[0:1]
	s_cbranch_execnz .LBB6_5
; %bb.1:
	s_or_saveexec_b64 s[68:69], s[22:23]
                                        ; implicit-def: $vgpr41
	s_xor_b64 exec, exec, s[68:69]
	s_cbranch_execnz .LBB6_6
.LBB6_2:
	s_or_b64 exec, exec, s[68:69]
	s_and_saveexec_b64 s[0:1], s[66:67]
.LBB6_3:
	; divergent unreachable
.LBB6_4:
	s_or_b64 exec, exec, s[0:1]
	v_mov_b32_e32 v0, v41
	scratch_load_dword v59, off, s33        ; 4-byte Folded Reload
	scratch_load_dword v58, off, s33 offset:4 ; 4-byte Folded Reload
	scratch_load_dword v57, off, s33 offset:8 ; 4-byte Folded Reload
	s_waitcnt lgkmcnt(0)
	scratch_load_dword v56, off, s33 offset:12 ; 4-byte Folded Reload
	scratch_load_dword v46, off, s33 offset:16 ; 4-byte Folded Reload
	;; [unrolled: 1-line block ×7, first 2 shown]
	v_readlane_b32 s30, v45, 32
	v_readlane_b32 s31, v45, 33
	;; [unrolled: 1-line block ×34, first 2 shown]
	s_mov_b32 s32, s33
	v_readlane_b32 s0, v45, 34
	s_or_saveexec_b64 s[2:3], -1
	scratch_load_dword v45, off, s33 offset:152 ; 4-byte Folded Reload
	scratch_load_dword v47, off, s33 offset:156 ; 4-byte Folded Reload
	s_mov_b64 exec, s[2:3]
	s_mov_b32 s33, s0
	s_waitcnt vmcnt(0)
	s_setpc_b64 s[30:31]
.LBB6_5:
	s_getpc_b64 s[0:1]
	s_add_u32 s0, s0, .str.33@rel32@lo+4
	s_addc_u32 s1, s1, .str.33@rel32@hi+12
	s_getpc_b64 s[2:3]
	s_add_u32 s2, s2, .str.31@rel32@lo+4
	s_addc_u32 s3, s3, .str.31@rel32@hi+12
	s_getpc_b64 s[4:5]
	s_add_u32 s4, s4, __PRETTY_FUNCTION__._ZN3sop12sopFactorRecEPNS_3SopEiP7VecsMemIjLi8192EEPN8subgUtil4SubgILi256EEE@rel32@lo+4
	s_addc_u32 s5, s5, __PRETTY_FUNCTION__._ZN3sop12sopFactorRecEPNS_3SopEiP7VecsMemIjLi8192EEPN8subgUtil4SubgILi256EEE@rel32@hi+12
	s_getpc_b64 s[6:7]
	s_add_u32 s6, s6, __assert_fail@rel32@lo+4
	s_addc_u32 s7, s7, __assert_fail@rel32@hi+12
	s_mov_b64 s[8:9], s[64:65]
	v_mov_b32_e32 v0, s0
	v_mov_b32_e32 v1, s1
	;; [unrolled: 1-line block ×7, first 2 shown]
	s_swappc_b64 s[30:31], s[6:7]
	s_mov_b64 s[66:67], exec
                                        ; implicit-def: $vgpr58
                                        ; implicit-def: $vgpr0
                                        ; implicit-def: $vgpr44
                                        ; implicit-def: $vgpr54_vgpr55
                                        ; implicit-def: $vgpr42
	s_or_saveexec_b64 s[68:69], s[22:23]
                                        ; implicit-def: $vgpr41
	s_xor_b64 exec, exec, s[68:69]
	s_cbranch_execz .LBB6_2
.LBB6_6:
	v_cmp_ne_u32_e32 vcc, 1, v0
	v_cmp_lt_i32_e64 s[62:63], 0, v44
	s_mov_b32 s12, 0
	s_and_b64 s[4:5], s[62:63], vcc
	s_mov_b64 s[80:81], 0
	s_mov_b64 s[2:3], -1
	s_mov_b64 s[70:71], s[66:67]
	s_mov_b64 s[0:1], -1
                                        ; implicit-def: $vgpr53
                                        ; implicit-def: $vgpr70_vgpr71
	s_and_saveexec_b64 s[22:23], s[4:5]
	s_cbranch_execz .LBB6_67
; %bb.7:
	flat_load_dwordx2 v[4:5], v[54:55] offset:8
	v_and_b32_e32 v1, 0x7ffffffe, v0
	v_bfe_u32 v2, v0, 1, 30
	v_mov_b32_e32 v3, 0
	v_and_b32_e32 v8, 0x80000001, v0
	v_cmp_ne_u32_e32 vcc, v0, v1
	s_mov_b64 s[4:5], 0
                                        ; implicit-def: $sgpr2_sgpr3
                                        ; implicit-def: $sgpr6_sgpr7
	s_waitcnt vmcnt(0) lgkmcnt(0)
	v_lshl_add_u64 v[2:3], v[2:3], 3, v[4:5]
	s_branch .LBB6_9
.LBB6_8:                                ;   in Loop: Header=BB6_9 Depth=1
	s_or_b64 exec, exec, s[10:11]
	s_and_b64 s[0:1], exec, s[8:9]
	s_or_b64 s[4:5], s[0:1], s[4:5]
	s_andn2_b64 s[0:1], s[2:3], exec
	s_and_b64 s[2:3], s[6:7], exec
	s_or_b64 s[2:3], s[0:1], s[2:3]
	s_andn2_b64 exec, exec, s[4:5]
	s_cbranch_execz .LBB6_17
.LBB6_9:                                ; =>This Loop Header: Depth=1
                                        ;     Child Loop BB6_10 Depth 2
                                        ;     Child Loop BB6_13 Depth 2
	s_mov_b32 s10, s12
	s_mov_b64 s[8:9], 0
	v_mov_b64_e32 v[6:7], v[4:5]
	v_mov_b32_e32 v11, v1
	v_mov_b32_e32 v9, 0
	;; [unrolled: 1-line block ×3, first 2 shown]
.LBB6_10:                               ;   Parent Loop BB6_9 Depth=1
                                        ; =>  This Inner Loop Header: Depth=2
	flat_load_dwordx2 v[12:13], v[6:7]
	v_add_u32_e32 v11, -2, v11
	v_cmp_eq_u32_e64 s[0:1], 0, v11
	v_lshl_add_u64 v[6:7], v[6:7], 0, 8
	s_or_b64 s[8:9], s[0:1], s[8:9]
	s_waitcnt vmcnt(0) lgkmcnt(0)
	v_lshrrev_b32_e32 v13, s10, v13
	v_lshrrev_b32_e32 v12, s12, v12
	v_and_b32_e32 v13, 1, v13
	v_and_b32_e32 v12, 1, v12
	v_add_u32_e32 v10, v13, v10
	v_add_u32_e32 v9, v12, v9
	s_andn2_b64 exec, exec, s[8:9]
	s_cbranch_execnz .LBB6_10
; %bb.11:                               ;   in Loop: Header=BB6_9 Depth=1
	s_or_b64 exec, exec, s[8:9]
	v_add_u32_e32 v9, v9, v10
	s_and_saveexec_b64 s[8:9], vcc
	s_cbranch_execz .LBB6_15
; %bb.12:                               ;   in Loop: Header=BB6_9 Depth=1
	s_mov_b64 s[10:11], 0
	v_mov_b64_e32 v[6:7], v[2:3]
	v_mov_b32_e32 v10, v8
.LBB6_13:                               ;   Parent Loop BB6_9 Depth=1
                                        ; =>  This Inner Loop Header: Depth=2
	flat_load_dword v11, v[6:7]
	v_add_u32_e32 v10, -1, v10
	v_cmp_eq_u32_e64 s[0:1], 0, v10
	v_lshl_add_u64 v[6:7], v[6:7], 0, 4
	s_or_b64 s[10:11], s[0:1], s[10:11]
	s_waitcnt vmcnt(0) lgkmcnt(0)
	v_bfe_u32 v11, v11, s12, 1
	v_add_u32_e32 v9, v11, v9
	s_andn2_b64 exec, exec, s[10:11]
	s_cbranch_execnz .LBB6_13
; %bb.14:                               ;   in Loop: Header=BB6_9 Depth=1
	s_or_b64 exec, exec, s[10:11]
.LBB6_15:                               ;   in Loop: Header=BB6_9 Depth=1
	s_or_b64 exec, exec, s[8:9]
	v_cmp_gt_u32_e64 s[0:1], 2, v9
	s_mov_b64 s[8:9], -1
	s_or_b64 s[6:7], s[6:7], exec
	s_and_saveexec_b64 s[10:11], s[0:1]
	s_cbranch_execz .LBB6_8
; %bb.16:                               ;   in Loop: Header=BB6_9 Depth=1
	s_add_i32 s12, s12, 1
	v_cmp_eq_u32_e64 s[0:1], s12, v44
	s_andn2_b64 s[6:7], s[6:7], exec
	s_orn2_b64 s[8:9], s[0:1], exec
	s_branch .LBB6_8
.LBB6_17:
	s_or_b64 exec, exec, s[4:5]
	s_mov_b64 s[4:5], 0
	s_mov_b64 s[6:7], -1
	s_mov_b64 s[8:9], s[66:67]
	s_mov_b64 s[10:11], -1
                                        ; implicit-def: $vgpr53
                                        ; implicit-def: $vgpr70_vgpr71
	s_and_saveexec_b64 s[0:1], s[2:3]
	s_xor_b64 s[24:25], exec, s[0:1]
	s_cbranch_execz .LBB6_66
; %bb.18:
	flat_load_dword v2, v[58:59]
	s_movk_i32 s4, 0x2001
	v_mov_b32_e32 v1, 0
	s_mov_b64 s[0:1], 0
	s_mov_b64 s[2:3], -1
	scratch_store_dword off, v1, s33 offset:108
                                        ; implicit-def: $vgpr53
                                        ; implicit-def: $vgpr70_vgpr71
	s_waitcnt vmcnt(0) lgkmcnt(0)
	v_add_u32_e32 v2, v2, v0
	v_cmp_gt_i32_e32 vcc, s4, v2
	s_mov_b64 s[4:5], s[66:67]
	s_and_saveexec_b64 s[26:27], vcc
	s_cbranch_execz .LBB6_65
; %bb.19:
	v_ashrrev_i32_e32 v3, 31, v2
	flat_store_dword v[58:59], v2
	v_lshlrev_b64 v[2:3], 2, v[2:3]
	v_lshl_add_u64 v[6:7], v[58:59], 0, v[2:3]
	v_lshlrev_b64 v[8:9], 2, v[0:1]
	v_sub_co_u32_e32 v0, vcc, v6, v8
	s_mov_b32 s2, 0
	s_nop 0
	v_subb_co_u32_e32 v1, vcc, v7, v9, vcc
	v_sub_co_u32_e32 v2, vcc, v2, v8
	v_lshl_add_u64 v[70:71], v[0:1], 0, 4
	s_nop 0
	v_subb_co_u32_e32 v3, vcc, v3, v9, vcc
	v_lshl_add_u64 v[2:3], v[58:59], 0, v[2:3]
	v_lshl_add_u64 v[2:3], v[2:3], 0, 4
	scratch_store_dwordx2 off, v[70:71], s33 offset:112
	v_mov_b64_e32 v[8:9], v[2:3]
.LBB6_20:                               ; =>This Inner Loop Header: Depth=1
	flat_load_dword v6, v[4:5]
	s_add_i32 s2, s2, 1
	v_lshl_add_u64 v[4:5], v[4:5], 0, 4
	s_waitcnt vmcnt(0) lgkmcnt(0)
	flat_store_dword v[8:9], v6
	flat_load_dword v7, v[54:55] offset:4
	v_mov_b32_e32 v6, s2
	v_lshl_add_u64 v[8:9], v[8:9], 0, 4
	s_waitcnt vmcnt(0) lgkmcnt(0)
	v_cmp_ge_i32_e32 vcc, s2, v7
	s_or_b64 s[0:1], vcc, s[0:1]
	s_andn2_b64 exec, exec, s[0:1]
	s_cbranch_execnz .LBB6_20
; %bb.21:
	s_or_b64 exec, exec, s[0:1]
	s_mov_b64 s[12:13], 0
	v_mov_b32_e32 v5, 0
	s_mov_b32 s20, 0xf4240
                                        ; implicit-def: $sgpr10_sgpr11
	s_branch .LBB6_25
.LBB6_22:                               ;   in Loop: Header=BB6_25 Depth=1
	s_or_b64 exec, exec, s[6:7]
.LBB6_23:                               ;   in Loop: Header=BB6_25 Depth=1
	s_or_b64 exec, exec, s[2:3]
	s_xor_b64 s[2:3], exec, -1
.LBB6_24:                               ;   in Loop: Header=BB6_25 Depth=1
	s_or_b64 exec, exec, s[4:5]
	s_and_b64 s[0:1], exec, s[2:3]
	s_or_b64 s[12:13], s[0:1], s[12:13]
	s_andn2_b64 s[0:1], s[10:11], exec
	s_and_b64 s[2:3], vcc, exec
	s_or_b64 s[10:11], s[0:1], s[2:3]
	s_andn2_b64 exec, exec, s[12:13]
	s_cbranch_execz .LBB6_62
.LBB6_25:                               ; =>This Loop Header: Depth=1
                                        ;     Child Loop BB6_28 Depth 2
                                        ;       Child Loop BB6_31 Depth 3
                                        ;       Child Loop BB6_35 Depth 3
                                        ;     Child Loop BB6_41 Depth 2
                                        ;     Child Loop BB6_47 Depth 2
	;; [unrolled: 1-line block ×5, first 2 shown]
	v_mov_b32_e32 v53, v6
	v_and_b32_e32 v9, 0x7ffffffe, v53
	v_cmp_lt_i32_e64 s[0:1], 0, v53
	v_cmp_gt_i32_e32 vcc, 1, v53
	v_cmp_ne_u32_e64 s[2:3], 1, v53
	v_cmp_ne_u32_e64 s[4:5], v53, v9
	v_mov_b32_e32 v8, -1
	v_mov_b32_e32 v10, 0xf4240
	s_mov_b64 s[14:15], 0
	s_mov_b32 s21, 0
	s_branch .LBB6_28
.LBB6_26:                               ;   in Loop: Header=BB6_28 Depth=2
	s_or_b64 exec, exec, s[16:17]
.LBB6_27:                               ;   in Loop: Header=BB6_28 Depth=2
	s_or_b64 exec, exec, s[8:9]
	v_cmp_lt_u32_e64 s[6:7], 1, v11
	v_cmp_gt_i32_e64 s[8:9], v10, v11
	v_mov_b32_e32 v4, s21
	s_add_i32 s21, s21, 1
	s_and_b64 s[6:7], s[6:7], s[8:9]
	v_cmp_eq_u32_e64 s[8:9], s21, v44
	v_cndmask_b32_e64 v8, v8, v4, s[6:7]
	s_or_b64 s[14:15], s[8:9], s[14:15]
	v_cndmask_b32_e64 v10, v10, v11, s[6:7]
	s_andn2_b64 exec, exec, s[14:15]
	s_cbranch_execz .LBB6_37
.LBB6_28:                               ;   Parent Loop BB6_25 Depth=1
                                        ; =>  This Loop Header: Depth=2
                                        ;       Child Loop BB6_31 Depth 3
                                        ;       Child Loop BB6_35 Depth 3
	v_mov_b32_e32 v11, 0
	s_and_saveexec_b64 s[8:9], s[0:1]
	s_cbranch_execz .LBB6_27
; %bb.29:                               ;   in Loop: Header=BB6_28 Depth=2
	s_mov_b64 s[6:7], -1
	v_mov_b32_e32 v4, 0
	v_mov_b32_e32 v11, 0
	s_and_saveexec_b64 s[16:17], s[2:3]
	s_cbranch_execz .LBB6_33
; %bb.30:                               ;   in Loop: Header=BB6_28 Depth=2
	s_mov_b32 s28, s21
	v_mov_b32_e32 v4, 0
	s_mov_b64 s[18:19], 0
	v_mov_b64_e32 v[6:7], v[2:3]
	v_mov_b32_e32 v12, v9
	v_mov_b32_e32 v11, 0
.LBB6_31:                               ;   Parent Loop BB6_25 Depth=1
                                        ;     Parent Loop BB6_28 Depth=2
                                        ; =>    This Inner Loop Header: Depth=3
	flat_load_dwordx2 v[14:15], v[6:7]
	v_add_u32_e32 v12, -2, v12
	v_cmp_eq_u32_e64 s[6:7], 0, v12
	v_lshl_add_u64 v[6:7], v[6:7], 0, 8
	s_or_b64 s[18:19], s[6:7], s[18:19]
	s_waitcnt vmcnt(0) lgkmcnt(0)
	v_lshrrev_b32_e32 v13, s28, v15
	v_lshrrev_b32_e32 v14, s21, v14
	v_and_b32_e32 v13, 1, v13
	v_and_b32_e32 v14, 1, v14
	v_add_u32_e32 v11, v13, v11
	v_add_u32_e32 v4, v14, v4
	s_andn2_b64 exec, exec, s[18:19]
	s_cbranch_execnz .LBB6_31
; %bb.32:                               ;   in Loop: Header=BB6_28 Depth=2
	s_or_b64 exec, exec, s[18:19]
	v_add_u32_e32 v11, v4, v11
	s_orn2_b64 s[6:7], s[4:5], exec
	v_mov_b32_e32 v4, v9
.LBB6_33:                               ;   in Loop: Header=BB6_28 Depth=2
	s_or_b64 exec, exec, s[16:17]
	s_and_saveexec_b64 s[16:17], s[6:7]
	s_cbranch_execz .LBB6_26
; %bb.34:                               ;   in Loop: Header=BB6_28 Depth=2
	v_sub_u32_e32 v12, v53, v4
	v_lshl_add_u64 v[6:7], v[4:5], 2, v[2:3]
	s_mov_b64 s[18:19], 0
.LBB6_35:                               ;   Parent Loop BB6_25 Depth=1
                                        ;     Parent Loop BB6_28 Depth=2
                                        ; =>    This Inner Loop Header: Depth=3
	flat_load_dword v4, v[6:7]
	v_add_u32_e32 v12, -1, v12
	v_cmp_eq_u32_e64 s[6:7], 0, v12
	v_lshl_add_u64 v[6:7], v[6:7], 0, 4
	s_or_b64 s[18:19], s[6:7], s[18:19]
	s_waitcnt vmcnt(0) lgkmcnt(0)
	v_bfe_u32 v4, v4, s21, 1
	v_add_u32_e32 v11, v4, v11
	s_andn2_b64 exec, exec, s[18:19]
	s_cbranch_execnz .LBB6_35
; %bb.36:                               ;   in Loop: Header=BB6_28 Depth=2
	s_or_b64 exec, exec, s[18:19]
	s_branch .LBB6_26
.LBB6_37:                               ;   in Loop: Header=BB6_25 Depth=1
	s_or_b64 exec, exec, s[14:15]
	v_cmp_gt_i32_e64 s[2:3], s20, v10
	v_cmp_ne_u32_e64 s[4:5], -1, v8
	s_and_b64 s[6:7], s[2:3], s[4:5]
	s_mov_b64 s[2:3], -1
                                        ; implicit-def: $vgpr6
	s_and_saveexec_b64 s[4:5], s[6:7]
	s_cbranch_execz .LBB6_24
; %bb.38:                               ;   in Loop: Header=BB6_25 Depth=1
	v_mov_b32_e32 v6, 0
	s_and_saveexec_b64 s[2:3], s[0:1]
	s_cbranch_execz .LBB6_44
; %bb.39:                               ;   in Loop: Header=BB6_25 Depth=1
	v_lshlrev_b32_e64 v4, v8, 1
	v_not_b32_e32 v10, v4
	v_mov_b32_e32 v6, 0
	s_mov_b64 s[6:7], 0
	s_mov_b32 s14, 0
	v_mov_b64_e32 v[8:9], v[2:3]
	s_branch .LBB6_41
.LBB6_40:                               ;   in Loop: Header=BB6_41 Depth=2
	s_or_b64 exec, exec, s[8:9]
	s_add_i32 s14, s14, 1
	v_cmp_ge_i32_e64 s[0:1], s14, v53
	s_or_b64 s[6:7], s[0:1], s[6:7]
	v_lshl_add_u64 v[8:9], v[8:9], 0, 4
	s_andn2_b64 exec, exec, s[6:7]
	s_cbranch_execz .LBB6_43
.LBB6_41:                               ;   Parent Loop BB6_25 Depth=1
                                        ; =>  This Inner Loop Header: Depth=2
	flat_load_dword v7, v[8:9]
	s_waitcnt vmcnt(0) lgkmcnt(0)
	v_and_b32_e32 v11, v7, v4
	v_cmp_ne_u32_e64 s[0:1], 0, v11
	s_and_saveexec_b64 s[8:9], s[0:1]
	s_cbranch_execz .LBB6_40
; %bb.42:                               ;   in Loop: Header=BB6_41 Depth=2
	v_and_b32_e32 v11, v7, v10
	v_ashrrev_i32_e32 v7, 31, v6
	v_add_u32_e32 v12, 1, v6
	v_lshl_add_u64 v[6:7], v[6:7], 2, v[0:1]
	flat_store_dword v[6:7], v11 offset:4
	v_mov_b32_e32 v6, v12
	s_branch .LBB6_40
.LBB6_43:                               ;   in Loop: Header=BB6_25 Depth=1
	s_or_b64 exec, exec, s[6:7]
.LBB6_44:                               ;   in Loop: Header=BB6_25 Depth=1
	s_or_b64 exec, exec, s[2:3]
	v_cmp_gt_i32_e64 s[0:1], 1, v6
	v_cmp_lt_i32_e64 s[2:3], 0, v6
	v_mov_b32_e32 v7, -1
	s_and_saveexec_b64 s[6:7], s[2:3]
	s_cbranch_execz .LBB6_54
; %bb.45:                               ;   in Loop: Header=BB6_25 Depth=1
	v_cmp_ne_u32_e64 s[2:3], 1, v6
	s_mov_b64 s[14:15], -1
	v_mov_b32_e32 v4, 0
	v_mov_b32_e32 v7, -1
	s_and_saveexec_b64 s[8:9], s[2:3]
	s_cbranch_execz .LBB6_49
; %bb.46:                               ;   in Loop: Header=BB6_25 Depth=1
	v_and_b32_e32 v4, 0x7ffffffe, v6
	v_mov_b32_e32 v7, -1
	s_mov_b64 s[14:15], 0
	v_mov_b64_e32 v[8:9], v[2:3]
	v_mov_b32_e32 v11, v4
	v_mov_b32_e32 v10, -1
.LBB6_47:                               ;   Parent Loop BB6_25 Depth=1
                                        ; =>  This Inner Loop Header: Depth=2
	flat_load_dwordx2 v[12:13], v[8:9]
	v_add_u32_e32 v11, -2, v11
	v_cmp_eq_u32_e64 s[2:3], 0, v11
	v_lshl_add_u64 v[8:9], v[8:9], 0, 8
	s_or_b64 s[14:15], s[2:3], s[14:15]
	s_waitcnt vmcnt(0) lgkmcnt(0)
	v_and_b32_e32 v10, v13, v10
	v_and_b32_e32 v7, v12, v7
	s_andn2_b64 exec, exec, s[14:15]
	s_cbranch_execnz .LBB6_47
; %bb.48:                               ;   in Loop: Header=BB6_25 Depth=1
	s_or_b64 exec, exec, s[14:15]
	v_cmp_ne_u32_e64 s[2:3], v6, v4
	v_and_b32_e32 v7, v7, v10
	s_orn2_b64 s[14:15], s[2:3], exec
.LBB6_49:                               ;   in Loop: Header=BB6_25 Depth=1
	s_or_b64 exec, exec, s[8:9]
	s_and_saveexec_b64 s[8:9], s[14:15]
	s_cbranch_execz .LBB6_53
; %bb.50:                               ;   in Loop: Header=BB6_25 Depth=1
	v_sub_u32_e32 v10, v6, v4
	v_lshl_add_u64 v[8:9], v[4:5], 2, v[2:3]
	s_mov_b64 s[14:15], 0
.LBB6_51:                               ;   Parent Loop BB6_25 Depth=1
                                        ; =>  This Inner Loop Header: Depth=2
	flat_load_dword v4, v[8:9]
	v_add_u32_e32 v10, -1, v10
	v_cmp_eq_u32_e64 s[2:3], 0, v10
	v_lshl_add_u64 v[8:9], v[8:9], 0, 4
	s_or_b64 s[14:15], s[2:3], s[14:15]
	s_waitcnt vmcnt(0) lgkmcnt(0)
	v_and_b32_e32 v7, v4, v7
	s_andn2_b64 exec, exec, s[14:15]
	s_cbranch_execnz .LBB6_51
; %bb.52:                               ;   in Loop: Header=BB6_25 Depth=1
	s_or_b64 exec, exec, s[14:15]
.LBB6_53:                               ;   in Loop: Header=BB6_25 Depth=1
	s_or_b64 exec, exec, s[8:9]
.LBB6_54:                               ;   in Loop: Header=BB6_25 Depth=1
	s_or_b64 exec, exec, s[6:7]
	v_cmp_ne_u32_e64 s[2:3], 0, v7
	s_xor_b64 s[0:1], s[0:1], -1
	s_and_b64 s[0:1], s[0:1], s[2:3]
	s_and_saveexec_b64 s[2:3], s[0:1]
	s_xor_b64 s[2:3], exec, s[2:3]
	s_cbranch_execz .LBB6_23
; %bb.55:                               ;   in Loop: Header=BB6_25 Depth=1
	v_not_b32_e32 v8, v7
	v_cmp_lt_u32_e64 s[0:1], 1, v6
	s_mov_b64 s[8:9], -1
	v_mov_b32_e32 v4, 0
	s_and_saveexec_b64 s[6:7], s[0:1]
	s_cbranch_execz .LBB6_59
; %bb.56:                               ;   in Loop: Header=BB6_25 Depth=1
	v_and_b32_e32 v4, 0x7ffffffe, v6
	v_mov_b32_e32 v7, v8
	s_mov_b64 s[8:9], 0
	v_mov_b64_e32 v[10:11], v[2:3]
	v_mov_b32_e32 v9, v4
.LBB6_57:                               ;   Parent Loop BB6_25 Depth=1
                                        ; =>  This Inner Loop Header: Depth=2
	flat_load_dwordx2 v[12:13], v[10:11]
	v_add_u32_e32 v9, -2, v9
	v_cmp_eq_u32_e64 s[0:1], 0, v9
	s_or_b64 s[8:9], s[0:1], s[8:9]
	s_waitcnt vmcnt(0) lgkmcnt(0)
	v_and_b32_e32 v13, v13, v7
	v_and_b32_e32 v12, v12, v8
	flat_store_dwordx2 v[10:11], v[12:13]
	v_lshl_add_u64 v[10:11], v[10:11], 0, 8
	s_andn2_b64 exec, exec, s[8:9]
	s_cbranch_execnz .LBB6_57
; %bb.58:                               ;   in Loop: Header=BB6_25 Depth=1
	s_or_b64 exec, exec, s[8:9]
	v_cmp_ne_u32_e64 s[0:1], v6, v4
	s_orn2_b64 s[8:9], s[0:1], exec
.LBB6_59:                               ;   in Loop: Header=BB6_25 Depth=1
	s_or_b64 exec, exec, s[6:7]
	s_and_saveexec_b64 s[6:7], s[8:9]
	s_cbranch_execz .LBB6_22
; %bb.60:                               ;   in Loop: Header=BB6_25 Depth=1
	v_sub_u32_e32 v7, v6, v4
	v_lshl_add_u64 v[10:11], v[4:5], 2, v[2:3]
	s_mov_b64 s[8:9], 0
.LBB6_61:                               ;   Parent Loop BB6_25 Depth=1
                                        ; =>  This Inner Loop Header: Depth=2
	flat_load_dword v4, v[10:11]
	v_add_u32_e32 v7, -1, v7
	v_cmp_eq_u32_e64 s[0:1], 0, v7
	s_or_b64 s[8:9], s[0:1], s[8:9]
	s_waitcnt vmcnt(0) lgkmcnt(0)
	v_and_b32_e32 v4, v4, v8
	flat_store_dword v[10:11], v4
	v_lshl_add_u64 v[10:11], v[10:11], 0, 4
	s_andn2_b64 exec, exec, s[8:9]
	s_cbranch_execnz .LBB6_61
	s_branch .LBB6_22
.LBB6_62:
	s_or_b64 exec, exec, s[12:13]
	s_mov_b64 s[0:1], -1
	s_mov_b64 s[2:3], s[66:67]
	scratch_store_dword off, v53, s33 offset:108
	s_and_saveexec_b64 s[28:29], s[10:11]
	s_cbranch_execz .LBB6_64
; %bb.63:
	s_getpc_b64 s[0:1]
	s_add_u32 s0, s0, .str.35@rel32@lo+4
	s_addc_u32 s1, s1, .str.35@rel32@hi+12
	s_getpc_b64 s[2:3]
	s_add_u32 s2, s2, .str.31@rel32@lo+4
	s_addc_u32 s3, s3, .str.31@rel32@hi+12
	s_getpc_b64 s[4:5]
	s_add_u32 s4, s4, __PRETTY_FUNCTION__._ZN3sop10sopDivisorEPNS_3SopES1_iP7VecsMemIjLi8192EE@rel32@lo+4
	s_addc_u32 s5, s5, __PRETTY_FUNCTION__._ZN3sop10sopDivisorEPNS_3SopES1_iP7VecsMemIjLi8192EE@rel32@hi+12
	s_getpc_b64 s[6:7]
	s_add_u32 s6, s6, __assert_fail@rel32@lo+4
	s_addc_u32 s7, s7, __assert_fail@rel32@hi+12
	s_mov_b64 s[8:9], s[64:65]
	v_mov_b32_e32 v0, s0
	v_mov_b32_e32 v1, s1
	;; [unrolled: 1-line block ×7, first 2 shown]
	s_swappc_b64 s[30:31], s[6:7]
	s_or_b64 s[2:3], s[66:67], exec
	s_xor_b64 s[0:1], exec, -1
.LBB6_64:
	s_or_b64 exec, exec, s[28:29]
	s_andn2_b64 s[4:5], s[66:67], exec
	s_and_b64 s[2:3], s[2:3], exec
	s_or_b64 s[4:5], s[4:5], s[2:3]
	s_xor_b64 s[2:3], exec, -1
	s_and_b64 s[0:1], s[0:1], exec
.LBB6_65:
	s_or_b64 exec, exec, s[26:27]
	s_andn2_b64 s[6:7], s[66:67], exec
	s_and_b64 s[4:5], s[4:5], exec
	s_orn2_b64 s[10:11], s[2:3], exec
	s_or_b64 s[8:9], s[6:7], s[4:5]
	s_and_b64 s[4:5], s[2:3], exec
	s_orn2_b64 s[6:7], s[0:1], exec
.LBB6_66:
	s_or_b64 exec, exec, s[24:25]
	s_andn2_b64 s[2:3], s[66:67], exec
	s_and_b64 s[8:9], s[8:9], exec
	s_orn2_b64 s[0:1], s[10:11], exec
	s_or_b64 s[70:71], s[2:3], s[8:9]
	s_and_b64 s[80:81], s[4:5], exec
	s_orn2_b64 s[2:3], s[6:7], exec
.LBB6_67:
	s_or_b64 exec, exec, s[22:23]
                                        ; implicit-def: $vgpr41
	s_and_saveexec_b64 s[82:83], s[2:3]
	s_cbranch_execz .LBB6_2903
; %bb.68:
	s_xor_b64 s[0:1], s[0:1], -1
	s_mov_b64 s[84:85], s[70:71]
                                        ; implicit-def: $vgpr41
	s_and_saveexec_b64 s[2:3], s[0:1]
	s_xor_b64 s[28:29], exec, s[2:3]
	s_cbranch_execz .LBB6_2900
; %bb.69:
	flat_load_dword v56, v[54:55] offset:4
	s_mov_b64 s[22:23], s[70:71]
                                        ; implicit-def: $vgpr41
	s_waitcnt vmcnt(0) lgkmcnt(0)
	v_cmp_ge_i32_e32 vcc, v56, v53
	s_and_saveexec_b64 s[0:1], vcc
	s_xor_b64 s[40:41], exec, s[0:1]
	s_cbranch_execz .LBB6_2897
; %bb.70:
	v_cmp_ne_u32_e32 vcc, 1, v53
	s_mov_b64 s[42:43], 0
	s_mov_b64 s[0:1], 0
	;; [unrolled: 1-line block ×3, first 2 shown]
                                        ; implicit-def: $vgpr68
                                        ; implicit-def: $vgpr66_vgpr67
                                        ; implicit-def: $vgpr64_vgpr65
	s_and_saveexec_b64 s[2:3], vcc
	s_xor_b64 s[22:23], exec, s[2:3]
	s_cbranch_execnz .LBB6_73
; %bb.71:
	s_or_saveexec_b64 s[2:3], s[22:23]
	s_mov_b64 s[56:57], 0
	s_xor_b64 exec, exec, s[2:3]
	s_cbranch_execnz .LBB6_431
.LBB6_72:
	s_or_b64 exec, exec, s[2:3]
                                        ; implicit-def: $vgpr41
	s_and_saveexec_b64 s[58:59], s[0:1]
	s_cbranch_execnz .LBB6_442
	s_branch .LBB6_2614
.LBB6_73:
	v_cvt_f32_u32_e32 v0, v53
	v_mov_b32_e32 v1, 0
	v_sub_u32_e32 v2, 0, v53
	scratch_store_dword off, v1, s33 offset:124
	v_rcp_iflag_f32_e32 v0, v0
	s_mov_b64 s[0:1], -1
	v_mov_b64_e32 v[66:67], 0
	s_mov_b64 s[24:25], s[70:71]
	v_mul_f32_e32 v0, 0x4f7ffffe, v0
	v_cvt_u32_f32_e32 v0, v0
	v_mul_lo_u32 v1, v2, v0
	v_mul_hi_u32 v1, v0, v1
	v_add_u32_e32 v0, v0, v1
	v_mul_hi_u32 v0, v56, v0
	v_mul_lo_u32 v1, v0, v53
	v_sub_u32_e32 v1, v56, v1
	v_add_u32_e32 v2, 1, v0
	v_cmp_ge_u32_e32 vcc, v1, v53
	s_nop 1
	v_cndmask_b32_e32 v0, v0, v2, vcc
	v_sub_u32_e32 v2, v1, v53
	v_cndmask_b32_e32 v1, v1, v2, vcc
	v_add_u32_e32 v2, 1, v0
	v_cmp_ge_u32_e32 vcc, v1, v53
	s_nop 1
	v_cndmask_b32_e32 v0, v0, v2, vcc
	v_cmp_lt_i32_e32 vcc, 0, v0
	s_and_saveexec_b64 s[26:27], vcc
	s_cbranch_execz .LBB6_218
; %bb.74:
	flat_load_dword v1, v[58:59]
	s_movk_i32 s0, 0x2001
	s_mov_b64 s[44:45], 0
	v_mov_b64_e32 v[66:67], 0
	s_waitcnt vmcnt(0) lgkmcnt(0)
	v_add_u32_e32 v2, v1, v0
	v_cmp_gt_i32_e32 vcc, s0, v2
	s_and_saveexec_b64 s[0:1], vcc
	s_xor_b64 s[0:1], exec, s[0:1]
	s_cbranch_execz .LBB6_76
; %bb.75:
	v_ashrrev_i32_e32 v3, 31, v2
	v_mov_b32_e32 v1, 0
	flat_store_dword v[58:59], v2
	v_lshl_add_u64 v[2:3], v[2:3], 2, v[58:59]
	v_lshlrev_b64 v[0:1], 2, v[0:1]
	v_sub_co_u32_e32 v0, vcc, v2, v0
	s_mov_b64 s[44:45], exec
	s_nop 0
	v_subb_co_u32_e32 v1, vcc, v3, v1, vcc
	v_lshl_add_u64 v[66:67], v[0:1], 0, 4
.LBB6_76:
	s_or_saveexec_b64 s[24:25], s[0:1]
	s_mov_b64 s[0:1], s[70:71]
	s_xor_b64 exec, exec, s[24:25]
	s_cbranch_execz .LBB6_217
; %bb.77:
	s_load_dwordx2 s[2:3], s[64:65], 0x50
	v_mbcnt_lo_u32_b32 v0, -1, 0
	v_mbcnt_hi_u32_b32 v32, -1, v0
	v_mov_b64_e32 v[4:5], 0
	v_readfirstlane_b32 s0, v32
	s_nop 1
	v_cmp_eq_u32_e64 s[0:1], s0, v32
	s_and_saveexec_b64 s[4:5], s[0:1]
	s_cbranch_execz .LBB6_83
; %bb.78:
	v_mov_b32_e32 v0, 0
	s_waitcnt lgkmcnt(0)
	global_load_dwordx2 v[6:7], v0, s[2:3] offset:24 sc0 sc1
	s_waitcnt vmcnt(0)
	buffer_inv sc0 sc1
	global_load_dwordx2 v[2:3], v0, s[2:3] offset:40
	global_load_dwordx2 v[4:5], v0, s[2:3]
	s_waitcnt vmcnt(1)
	v_and_b32_e32 v1, v2, v6
	v_and_b32_e32 v2, v3, v7
	v_mul_lo_u32 v2, v2, 24
	v_mul_hi_u32 v3, v1, 24
	v_add_u32_e32 v3, v3, v2
	v_mul_lo_u32 v2, v1, 24
	s_waitcnt vmcnt(0)
	v_lshl_add_u64 v[2:3], v[4:5], 0, v[2:3]
	global_load_dwordx2 v[4:5], v[2:3], off sc0 sc1
	s_waitcnt vmcnt(0)
	global_atomic_cmpswap_x2 v[4:5], v0, v[4:7], s[2:3] offset:24 sc0 sc1
	s_waitcnt vmcnt(0)
	buffer_inv sc0 sc1
	v_cmp_ne_u64_e32 vcc, v[4:5], v[6:7]
	s_and_saveexec_b64 s[6:7], vcc
	s_cbranch_execz .LBB6_82
; %bb.79:
	s_mov_b64 s[8:9], 0
.LBB6_80:                               ; =>This Inner Loop Header: Depth=1
	s_sleep 1
	global_load_dwordx2 v[2:3], v0, s[2:3] offset:40
	global_load_dwordx2 v[8:9], v0, s[2:3]
	v_mov_b64_e32 v[6:7], v[4:5]
	s_waitcnt vmcnt(1)
	v_and_b32_e32 v2, v2, v6
	v_and_b32_e32 v1, v3, v7
	s_waitcnt vmcnt(0)
	v_mad_u64_u32 v[2:3], s[10:11], v2, 24, v[8:9]
	v_mov_b32_e32 v4, v3
	v_mad_u64_u32 v[4:5], s[10:11], v1, 24, v[4:5]
	v_mov_b32_e32 v3, v4
	global_load_dwordx2 v[4:5], v[2:3], off sc0 sc1
	s_waitcnt vmcnt(0)
	global_atomic_cmpswap_x2 v[4:5], v0, v[4:7], s[2:3] offset:24 sc0 sc1
	s_waitcnt vmcnt(0)
	buffer_inv sc0 sc1
	v_cmp_eq_u64_e32 vcc, v[4:5], v[6:7]
	s_or_b64 s[8:9], vcc, s[8:9]
	s_andn2_b64 exec, exec, s[8:9]
	s_cbranch_execnz .LBB6_80
; %bb.81:
	s_or_b64 exec, exec, s[8:9]
.LBB6_82:
	s_or_b64 exec, exec, s[6:7]
.LBB6_83:
	s_or_b64 exec, exec, s[4:5]
	v_mov_b32_e32 v27, 0
	s_waitcnt lgkmcnt(0)
	global_load_dwordx2 v[6:7], v27, s[2:3] offset:40
	global_load_dwordx4 v[0:3], v27, s[2:3]
	v_readfirstlane_b32 s5, v5
	v_readfirstlane_b32 s4, v4
	s_mov_b64 s[6:7], exec
	s_waitcnt vmcnt(0)
	v_readfirstlane_b32 s8, v6
	v_readfirstlane_b32 s9, v7
	s_and_b64 s[8:9], s[8:9], s[4:5]
	s_mul_i32 s10, s9, 24
	s_mul_hi_u32 s11, s8, 24
	s_add_i32 s11, s11, s10
	s_mul_i32 s10, s8, 24
	v_lshl_add_u64 v[4:5], v[0:1], 0, s[10:11]
	s_and_saveexec_b64 s[10:11], s[0:1]
	s_cbranch_execz .LBB6_85
; %bb.84:
	v_mov_b64_e32 v[6:7], s[6:7]
	v_mov_b32_e32 v8, 2
	v_mov_b32_e32 v9, 1
	global_store_dwordx4 v[4:5], v[6:9], off offset:8
.LBB6_85:
	s_or_b64 exec, exec, s[10:11]
	s_lshl_b64 s[6:7], s[8:9], 12
	v_lshl_add_u64 v[6:7], v[2:3], 0, s[6:7]
	s_mov_b32 s8, 0
	v_lshlrev_b32_e32 v26, 6, v32
	v_mov_b32_e32 v8, 33
	v_mov_b32_e32 v9, v27
	;; [unrolled: 1-line block ×4, first 2 shown]
	v_readfirstlane_b32 s6, v6
	v_readfirstlane_b32 s7, v7
	s_mov_b32 s9, s8
	s_mov_b32 s10, s8
	;; [unrolled: 1-line block ×3, first 2 shown]
	s_nop 1
	global_store_dwordx4 v26, v[8:11], s[6:7]
	s_nop 1
	v_mov_b64_e32 v[8:9], s[8:9]
	v_mov_b64_e32 v[10:11], s[10:11]
	global_store_dwordx4 v26, v[8:11], s[6:7] offset:16
	global_store_dwordx4 v26, v[8:11], s[6:7] offset:32
	;; [unrolled: 1-line block ×3, first 2 shown]
	s_and_saveexec_b64 s[6:7], s[0:1]
	s_cbranch_execz .LBB6_93
; %bb.86:
	v_mov_b32_e32 v10, 0
	global_load_dwordx2 v[14:15], v10, s[2:3] offset:32 sc0 sc1
	global_load_dwordx2 v[2:3], v10, s[2:3] offset:40
	v_mov_b32_e32 v12, s4
	v_mov_b32_e32 v13, s5
	s_waitcnt vmcnt(0)
	v_and_b32_e32 v2, s4, v2
	v_and_b32_e32 v3, s5, v3
	v_mul_lo_u32 v3, v3, 24
	v_mul_hi_u32 v8, v2, 24
	v_mul_lo_u32 v2, v2, 24
	v_add_u32_e32 v3, v8, v3
	v_lshl_add_u64 v[8:9], v[0:1], 0, v[2:3]
	global_store_dwordx2 v[8:9], v[14:15], off
	buffer_wbl2 sc0 sc1
	s_waitcnt vmcnt(0)
	global_atomic_cmpswap_x2 v[2:3], v10, v[12:15], s[2:3] offset:32 sc0 sc1
	s_waitcnt vmcnt(0)
	v_cmp_ne_u64_e32 vcc, v[2:3], v[14:15]
	s_and_saveexec_b64 s[8:9], vcc
	s_cbranch_execz .LBB6_89
; %bb.87:
	s_mov_b64 s[10:11], 0
.LBB6_88:                               ; =>This Inner Loop Header: Depth=1
	s_sleep 1
	global_store_dwordx2 v[8:9], v[2:3], off
	v_mov_b32_e32 v0, s4
	v_mov_b32_e32 v1, s5
	buffer_wbl2 sc0 sc1
	s_waitcnt vmcnt(0)
	global_atomic_cmpswap_x2 v[0:1], v10, v[0:3], s[2:3] offset:32 sc0 sc1
	s_waitcnt vmcnt(0)
	v_cmp_eq_u64_e32 vcc, v[0:1], v[2:3]
	s_or_b64 s[10:11], vcc, s[10:11]
	v_mov_b64_e32 v[2:3], v[0:1]
	s_andn2_b64 exec, exec, s[10:11]
	s_cbranch_execnz .LBB6_88
.LBB6_89:
	s_or_b64 exec, exec, s[8:9]
	v_mov_b32_e32 v3, 0
	global_load_dwordx2 v[0:1], v3, s[2:3] offset:16
	s_mov_b64 s[8:9], exec
	v_mbcnt_lo_u32_b32 v2, s8, 0
	v_mbcnt_hi_u32_b32 v2, s9, v2
	v_cmp_eq_u32_e32 vcc, 0, v2
	s_and_saveexec_b64 s[10:11], vcc
	s_cbranch_execz .LBB6_91
; %bb.90:
	s_bcnt1_i32_b64 s8, s[8:9]
	v_mov_b32_e32 v2, s8
	buffer_wbl2 sc0 sc1
	s_waitcnt vmcnt(0)
	global_atomic_add_x2 v[0:1], v[2:3], off offset:8 sc1
.LBB6_91:
	s_or_b64 exec, exec, s[10:11]
	s_waitcnt vmcnt(0)
	global_load_dwordx2 v[2:3], v[0:1], off offset:16
	s_waitcnt vmcnt(0)
	v_cmp_eq_u64_e32 vcc, 0, v[2:3]
	s_cbranch_vccnz .LBB6_93
; %bb.92:
	global_load_dword v0, v[0:1], off offset:24
	v_mov_b32_e32 v1, 0
	s_waitcnt vmcnt(0)
	v_readfirstlane_b32 s8, v0
	s_and_b32 m0, s8, 0xffffff
	buffer_wbl2 sc0 sc1
	global_store_dwordx2 v[2:3], v[0:1], off sc0 sc1
	s_sendmsg sendmsg(MSG_INTERRUPT)
.LBB6_93:
	s_or_b64 exec, exec, s[6:7]
	v_lshl_add_u64 v[0:1], v[6:7], 0, v[26:27]
	s_branch .LBB6_97
.LBB6_94:                               ;   in Loop: Header=BB6_97 Depth=1
	s_or_b64 exec, exec, s[6:7]
	v_readfirstlane_b32 s6, v2
	s_cmp_eq_u32 s6, 0
	s_cbranch_scc1 .LBB6_96
; %bb.95:                               ;   in Loop: Header=BB6_97 Depth=1
	s_sleep 1
	s_cbranch_execnz .LBB6_97
	s_branch .LBB6_99
.LBB6_96:
	s_branch .LBB6_99
.LBB6_97:                               ; =>This Inner Loop Header: Depth=1
	v_mov_b32_e32 v2, 1
	s_and_saveexec_b64 s[6:7], s[0:1]
	s_cbranch_execz .LBB6_94
; %bb.98:                               ;   in Loop: Header=BB6_97 Depth=1
	global_load_dword v2, v[4:5], off offset:20 sc0 sc1
	s_waitcnt vmcnt(0)
	buffer_inv sc0 sc1
	v_and_b32_e32 v2, 1, v2
	s_branch .LBB6_94
.LBB6_99:
	global_load_dwordx2 v[0:1], v[0:1], off
	s_and_saveexec_b64 s[6:7], s[0:1]
	s_cbranch_execz .LBB6_102
; %bb.100:
	v_mov_b32_e32 v8, 0
	global_load_dwordx2 v[2:3], v8, s[2:3] offset:40
	global_load_dwordx2 v[12:13], v8, s[2:3] offset:24 sc0 sc1
	global_load_dwordx2 v[4:5], v8, s[2:3]
	s_waitcnt vmcnt(2)
	v_readfirstlane_b32 s8, v2
	v_readfirstlane_b32 s9, v3
	s_add_u32 s10, s8, 1
	s_addc_u32 s11, s9, 0
	s_add_u32 s0, s10, s4
	s_addc_u32 s1, s11, s5
	s_cmp_eq_u64 s[0:1], 0
	s_cselect_b32 s1, s11, s1
	s_cselect_b32 s0, s10, s0
	s_and_b64 s[4:5], s[0:1], s[8:9]
	s_mul_i32 s5, s5, 24
	s_mul_hi_u32 s8, s4, 24
	s_mul_i32 s4, s4, 24
	s_add_i32 s5, s8, s5
	s_waitcnt vmcnt(0)
	v_lshl_add_u64 v[6:7], v[4:5], 0, s[4:5]
	v_mov_b32_e32 v10, s0
	global_store_dwordx2 v[6:7], v[12:13], off
	v_mov_b32_e32 v11, s1
	buffer_wbl2 sc0 sc1
	s_waitcnt vmcnt(0)
	global_atomic_cmpswap_x2 v[4:5], v8, v[10:13], s[2:3] offset:24 sc0 sc1
	s_mov_b64 s[4:5], 0
	s_waitcnt vmcnt(0)
	v_cmp_ne_u64_e32 vcc, v[4:5], v[12:13]
	s_and_b64 exec, exec, vcc
	s_cbranch_execz .LBB6_102
.LBB6_101:                              ; =>This Inner Loop Header: Depth=1
	s_sleep 1
	global_store_dwordx2 v[6:7], v[4:5], off
	v_mov_b32_e32 v2, s0
	v_mov_b32_e32 v3, s1
	buffer_wbl2 sc0 sc1
	s_waitcnt vmcnt(0)
	global_atomic_cmpswap_x2 v[2:3], v8, v[2:5], s[2:3] offset:24 sc0 sc1
	s_waitcnt vmcnt(0)
	v_cmp_eq_u64_e32 vcc, v[2:3], v[4:5]
	s_or_b64 s[4:5], vcc, s[4:5]
	v_mov_b64_e32 v[4:5], v[2:3]
	s_andn2_b64 exec, exec, s[4:5]
	s_cbranch_execnz .LBB6_101
.LBB6_102:
	s_or_b64 exec, exec, s[6:7]
	s_getpc_b64 s[4:5]
	s_add_u32 s4, s4, .str.28@rel32@lo+4
	s_addc_u32 s5, s5, .str.28@rel32@hi+12
	s_cmp_lg_u64 s[4:5], 0
	s_cbranch_scc0 .LBB6_188
; %bb.103:
	s_waitcnt vmcnt(0)
	v_and_b32_e32 v6, -3, v0
	v_mov_b32_e32 v7, v1
	s_mov_b64 s[6:7], 35
	v_mov_b32_e32 v29, 0
	v_mov_b32_e32 v4, 2
	v_mov_b32_e32 v5, 1
	s_branch .LBB6_105
.LBB6_104:                              ;   in Loop: Header=BB6_105 Depth=1
	s_or_b64 exec, exec, s[12:13]
	s_sub_u32 s6, s6, s8
	s_subb_u32 s7, s7, s9
	s_add_u32 s4, s4, s8
	s_addc_u32 s5, s5, s9
	s_cmp_lg_u64 s[6:7], 0
	s_cbranch_scc0 .LBB6_187
.LBB6_105:                              ; =>This Loop Header: Depth=1
                                        ;     Child Loop BB6_108 Depth 2
                                        ;     Child Loop BB6_116 Depth 2
	;; [unrolled: 1-line block ×11, first 2 shown]
	v_cmp_lt_u64_e64 s[0:1], s[6:7], 56
	s_and_b64 s[0:1], s[0:1], exec
	s_cselect_b32 s9, s7, 0
	s_cselect_b32 s8, s6, 56
	v_cmp_gt_u64_e64 s[10:11], s[6:7], 7
	s_add_u32 s0, s4, 8
	s_addc_u32 s1, s5, 0
	s_and_b64 vcc, exec, s[10:11]
	s_cbranch_vccnz .LBB6_109
; %bb.106:                              ;   in Loop: Header=BB6_105 Depth=1
	s_cmp_eq_u64 s[6:7], 0
	s_cbranch_scc1 .LBB6_110
; %bb.107:                              ;   in Loop: Header=BB6_105 Depth=1
	s_lshl_b64 s[0:1], s[8:9], 3
	s_mov_b64 s[10:11], 0
	s_waitcnt vmcnt(0)
	v_mov_b64_e32 v[8:9], 0
	s_mov_b64 s[12:13], s[4:5]
.LBB6_108:                              ;   Parent Loop BB6_105 Depth=1
                                        ; =>  This Inner Loop Header: Depth=2
	global_load_ubyte v2, v29, s[12:13]
	s_waitcnt vmcnt(0)
	v_and_b32_e32 v28, 0xffff, v2
	v_lshlrev_b64 v[2:3], s10, v[28:29]
	s_add_u32 s10, s10, 8
	s_addc_u32 s11, s11, 0
	s_add_u32 s12, s12, 1
	s_addc_u32 s13, s13, 0
	v_or_b32_e32 v8, v2, v8
	s_cmp_lg_u32 s0, s10
	v_or_b32_e32 v9, v3, v9
	s_cbranch_scc1 .LBB6_108
	s_branch .LBB6_111
.LBB6_109:                              ;   in Loop: Header=BB6_105 Depth=1
	s_mov_b32 s14, 0
	s_branch .LBB6_112
.LBB6_110:                              ;   in Loop: Header=BB6_105 Depth=1
	s_waitcnt vmcnt(0)
	v_mov_b64_e32 v[8:9], 0
.LBB6_111:                              ;   in Loop: Header=BB6_105 Depth=1
	s_mov_b64 s[0:1], s[4:5]
	s_mov_b32 s14, 0
	s_cbranch_execnz .LBB6_113
.LBB6_112:                              ;   in Loop: Header=BB6_105 Depth=1
	global_load_dwordx2 v[8:9], v29, s[4:5]
	s_add_i32 s14, s8, -8
.LBB6_113:                              ;   in Loop: Header=BB6_105 Depth=1
	s_add_u32 s10, s0, 8
	s_addc_u32 s11, s1, 0
	s_cmp_gt_u32 s14, 7
	s_cbranch_scc1 .LBB6_117
; %bb.114:                              ;   in Loop: Header=BB6_105 Depth=1
	s_cmp_eq_u32 s14, 0
	s_cbranch_scc1 .LBB6_118
; %bb.115:                              ;   in Loop: Header=BB6_105 Depth=1
	s_mov_b64 s[10:11], 0
	v_mov_b64_e32 v[10:11], 0
	s_mov_b64 s[12:13], 0
.LBB6_116:                              ;   Parent Loop BB6_105 Depth=1
                                        ; =>  This Inner Loop Header: Depth=2
	s_add_u32 s16, s0, s12
	s_addc_u32 s17, s1, s13
	global_load_ubyte v2, v29, s[16:17]
	s_add_u32 s12, s12, 1
	s_addc_u32 s13, s13, 0
	s_waitcnt vmcnt(0)
	v_and_b32_e32 v28, 0xffff, v2
	v_lshlrev_b64 v[2:3], s10, v[28:29]
	s_add_u32 s10, s10, 8
	s_addc_u32 s11, s11, 0
	v_or_b32_e32 v10, v2, v10
	s_cmp_lg_u32 s14, s12
	v_or_b32_e32 v11, v3, v11
	s_cbranch_scc1 .LBB6_116
	s_branch .LBB6_119
.LBB6_117:                              ;   in Loop: Header=BB6_105 Depth=1
                                        ; implicit-def: $vgpr10_vgpr11
	s_mov_b32 s15, 0
	s_branch .LBB6_120
.LBB6_118:                              ;   in Loop: Header=BB6_105 Depth=1
	v_mov_b64_e32 v[10:11], 0
.LBB6_119:                              ;   in Loop: Header=BB6_105 Depth=1
	s_mov_b64 s[10:11], s[0:1]
	s_mov_b32 s15, 0
	s_cbranch_execnz .LBB6_121
.LBB6_120:                              ;   in Loop: Header=BB6_105 Depth=1
	global_load_dwordx2 v[10:11], v29, s[0:1]
	s_add_i32 s15, s14, -8
.LBB6_121:                              ;   in Loop: Header=BB6_105 Depth=1
	s_add_u32 s0, s10, 8
	s_addc_u32 s1, s11, 0
	s_cmp_gt_u32 s15, 7
	s_cbranch_scc1 .LBB6_125
; %bb.122:                              ;   in Loop: Header=BB6_105 Depth=1
	s_cmp_eq_u32 s15, 0
	s_cbranch_scc1 .LBB6_126
; %bb.123:                              ;   in Loop: Header=BB6_105 Depth=1
	s_mov_b64 s[0:1], 0
	v_mov_b64_e32 v[12:13], 0
	s_mov_b64 s[12:13], 0
.LBB6_124:                              ;   Parent Loop BB6_105 Depth=1
                                        ; =>  This Inner Loop Header: Depth=2
	s_add_u32 s16, s10, s12
	s_addc_u32 s17, s11, s13
	global_load_ubyte v2, v29, s[16:17]
	s_add_u32 s12, s12, 1
	s_addc_u32 s13, s13, 0
	s_waitcnt vmcnt(0)
	v_and_b32_e32 v28, 0xffff, v2
	v_lshlrev_b64 v[2:3], s0, v[28:29]
	s_add_u32 s0, s0, 8
	s_addc_u32 s1, s1, 0
	v_or_b32_e32 v12, v2, v12
	s_cmp_lg_u32 s15, s12
	v_or_b32_e32 v13, v3, v13
	s_cbranch_scc1 .LBB6_124
	s_branch .LBB6_127
.LBB6_125:                              ;   in Loop: Header=BB6_105 Depth=1
	s_mov_b32 s14, 0
	s_branch .LBB6_128
.LBB6_126:                              ;   in Loop: Header=BB6_105 Depth=1
	v_mov_b64_e32 v[12:13], 0
.LBB6_127:                              ;   in Loop: Header=BB6_105 Depth=1
	s_mov_b64 s[0:1], s[10:11]
	s_mov_b32 s14, 0
	s_cbranch_execnz .LBB6_129
.LBB6_128:                              ;   in Loop: Header=BB6_105 Depth=1
	global_load_dwordx2 v[12:13], v29, s[10:11]
	s_add_i32 s14, s15, -8
.LBB6_129:                              ;   in Loop: Header=BB6_105 Depth=1
	s_add_u32 s10, s0, 8
	s_addc_u32 s11, s1, 0
	s_cmp_gt_u32 s14, 7
	s_cbranch_scc1 .LBB6_133
; %bb.130:                              ;   in Loop: Header=BB6_105 Depth=1
	s_cmp_eq_u32 s14, 0
	s_cbranch_scc1 .LBB6_134
; %bb.131:                              ;   in Loop: Header=BB6_105 Depth=1
	s_mov_b64 s[10:11], 0
	v_mov_b64_e32 v[14:15], 0
	s_mov_b64 s[12:13], 0
.LBB6_132:                              ;   Parent Loop BB6_105 Depth=1
                                        ; =>  This Inner Loop Header: Depth=2
	s_add_u32 s16, s0, s12
	s_addc_u32 s17, s1, s13
	global_load_ubyte v2, v29, s[16:17]
	s_add_u32 s12, s12, 1
	s_addc_u32 s13, s13, 0
	s_waitcnt vmcnt(0)
	v_and_b32_e32 v28, 0xffff, v2
	v_lshlrev_b64 v[2:3], s10, v[28:29]
	s_add_u32 s10, s10, 8
	s_addc_u32 s11, s11, 0
	v_or_b32_e32 v14, v2, v14
	s_cmp_lg_u32 s14, s12
	v_or_b32_e32 v15, v3, v15
	s_cbranch_scc1 .LBB6_132
	s_branch .LBB6_135
.LBB6_133:                              ;   in Loop: Header=BB6_105 Depth=1
                                        ; implicit-def: $vgpr14_vgpr15
	s_mov_b32 s15, 0
	s_branch .LBB6_136
.LBB6_134:                              ;   in Loop: Header=BB6_105 Depth=1
	v_mov_b64_e32 v[14:15], 0
.LBB6_135:                              ;   in Loop: Header=BB6_105 Depth=1
	s_mov_b64 s[10:11], s[0:1]
	s_mov_b32 s15, 0
	s_cbranch_execnz .LBB6_137
.LBB6_136:                              ;   in Loop: Header=BB6_105 Depth=1
	global_load_dwordx2 v[14:15], v29, s[0:1]
	s_add_i32 s15, s14, -8
.LBB6_137:                              ;   in Loop: Header=BB6_105 Depth=1
	s_add_u32 s0, s10, 8
	s_addc_u32 s1, s11, 0
	s_cmp_gt_u32 s15, 7
	s_cbranch_scc1 .LBB6_141
; %bb.138:                              ;   in Loop: Header=BB6_105 Depth=1
	s_cmp_eq_u32 s15, 0
	s_cbranch_scc1 .LBB6_142
; %bb.139:                              ;   in Loop: Header=BB6_105 Depth=1
	s_mov_b64 s[0:1], 0
	v_mov_b64_e32 v[16:17], 0
	s_mov_b64 s[12:13], 0
.LBB6_140:                              ;   Parent Loop BB6_105 Depth=1
                                        ; =>  This Inner Loop Header: Depth=2
	s_add_u32 s16, s10, s12
	s_addc_u32 s17, s11, s13
	global_load_ubyte v2, v29, s[16:17]
	s_add_u32 s12, s12, 1
	s_addc_u32 s13, s13, 0
	s_waitcnt vmcnt(0)
	v_and_b32_e32 v28, 0xffff, v2
	v_lshlrev_b64 v[2:3], s0, v[28:29]
	s_add_u32 s0, s0, 8
	s_addc_u32 s1, s1, 0
	v_or_b32_e32 v16, v2, v16
	s_cmp_lg_u32 s15, s12
	v_or_b32_e32 v17, v3, v17
	s_cbranch_scc1 .LBB6_140
	s_branch .LBB6_143
.LBB6_141:                              ;   in Loop: Header=BB6_105 Depth=1
	s_mov_b32 s14, 0
	s_branch .LBB6_144
.LBB6_142:                              ;   in Loop: Header=BB6_105 Depth=1
	v_mov_b64_e32 v[16:17], 0
.LBB6_143:                              ;   in Loop: Header=BB6_105 Depth=1
	s_mov_b64 s[0:1], s[10:11]
	s_mov_b32 s14, 0
	s_cbranch_execnz .LBB6_145
.LBB6_144:                              ;   in Loop: Header=BB6_105 Depth=1
	global_load_dwordx2 v[16:17], v29, s[10:11]
	s_add_i32 s14, s15, -8
.LBB6_145:                              ;   in Loop: Header=BB6_105 Depth=1
	s_add_u32 s10, s0, 8
	s_addc_u32 s11, s1, 0
	s_cmp_gt_u32 s14, 7
	s_cbranch_scc1 .LBB6_149
; %bb.146:                              ;   in Loop: Header=BB6_105 Depth=1
	s_cmp_eq_u32 s14, 0
	s_cbranch_scc1 .LBB6_150
; %bb.147:                              ;   in Loop: Header=BB6_105 Depth=1
	s_mov_b64 s[10:11], 0
	v_mov_b64_e32 v[18:19], 0
	s_mov_b64 s[12:13], 0
.LBB6_148:                              ;   Parent Loop BB6_105 Depth=1
                                        ; =>  This Inner Loop Header: Depth=2
	s_add_u32 s16, s0, s12
	s_addc_u32 s17, s1, s13
	global_load_ubyte v2, v29, s[16:17]
	s_add_u32 s12, s12, 1
	s_addc_u32 s13, s13, 0
	s_waitcnt vmcnt(0)
	v_and_b32_e32 v28, 0xffff, v2
	v_lshlrev_b64 v[2:3], s10, v[28:29]
	s_add_u32 s10, s10, 8
	s_addc_u32 s11, s11, 0
	v_or_b32_e32 v18, v2, v18
	s_cmp_lg_u32 s14, s12
	v_or_b32_e32 v19, v3, v19
	s_cbranch_scc1 .LBB6_148
	s_branch .LBB6_151
.LBB6_149:                              ;   in Loop: Header=BB6_105 Depth=1
                                        ; implicit-def: $vgpr18_vgpr19
	s_mov_b32 s15, 0
	s_branch .LBB6_152
.LBB6_150:                              ;   in Loop: Header=BB6_105 Depth=1
	v_mov_b64_e32 v[18:19], 0
.LBB6_151:                              ;   in Loop: Header=BB6_105 Depth=1
	s_mov_b64 s[10:11], s[0:1]
	s_mov_b32 s15, 0
	s_cbranch_execnz .LBB6_153
.LBB6_152:                              ;   in Loop: Header=BB6_105 Depth=1
	global_load_dwordx2 v[18:19], v29, s[0:1]
	s_add_i32 s15, s14, -8
.LBB6_153:                              ;   in Loop: Header=BB6_105 Depth=1
	s_cmp_gt_u32 s15, 7
	s_cbranch_scc1 .LBB6_157
; %bb.154:                              ;   in Loop: Header=BB6_105 Depth=1
	s_cmp_eq_u32 s15, 0
	s_cbranch_scc1 .LBB6_158
; %bb.155:                              ;   in Loop: Header=BB6_105 Depth=1
	s_mov_b64 s[0:1], 0
	v_mov_b64_e32 v[20:21], 0
	s_mov_b64 s[12:13], s[10:11]
.LBB6_156:                              ;   Parent Loop BB6_105 Depth=1
                                        ; =>  This Inner Loop Header: Depth=2
	global_load_ubyte v2, v29, s[12:13]
	s_add_i32 s15, s15, -1
	s_waitcnt vmcnt(0)
	v_and_b32_e32 v28, 0xffff, v2
	v_lshlrev_b64 v[2:3], s0, v[28:29]
	s_add_u32 s0, s0, 8
	s_addc_u32 s1, s1, 0
	s_add_u32 s12, s12, 1
	s_addc_u32 s13, s13, 0
	v_or_b32_e32 v20, v2, v20
	s_cmp_lg_u32 s15, 0
	v_or_b32_e32 v21, v3, v21
	s_cbranch_scc1 .LBB6_156
	s_branch .LBB6_159
.LBB6_157:                              ;   in Loop: Header=BB6_105 Depth=1
	s_branch .LBB6_160
.LBB6_158:                              ;   in Loop: Header=BB6_105 Depth=1
	v_mov_b64_e32 v[20:21], 0
.LBB6_159:                              ;   in Loop: Header=BB6_105 Depth=1
	s_cbranch_execnz .LBB6_161
.LBB6_160:                              ;   in Loop: Header=BB6_105 Depth=1
	global_load_dwordx2 v[20:21], v29, s[10:11]
.LBB6_161:                              ;   in Loop: Header=BB6_105 Depth=1
	v_readfirstlane_b32 s0, v32
	v_mov_b64_e32 v[2:3], 0
	s_nop 0
	v_cmp_eq_u32_e64 s[0:1], s0, v32
	s_and_saveexec_b64 s[10:11], s[0:1]
	s_cbranch_execz .LBB6_167
; %bb.162:                              ;   in Loop: Header=BB6_105 Depth=1
	global_load_dwordx2 v[24:25], v29, s[2:3] offset:24 sc0 sc1
	s_waitcnt vmcnt(0)
	buffer_inv sc0 sc1
	global_load_dwordx2 v[2:3], v29, s[2:3] offset:40
	global_load_dwordx2 v[22:23], v29, s[2:3]
	s_waitcnt vmcnt(1)
	v_and_b32_e32 v2, v2, v24
	v_and_b32_e32 v3, v3, v25
	v_mul_lo_u32 v3, v3, 24
	v_mul_hi_u32 v27, v2, 24
	v_add_u32_e32 v3, v27, v3
	v_mul_lo_u32 v2, v2, 24
	s_waitcnt vmcnt(0)
	v_lshl_add_u64 v[2:3], v[22:23], 0, v[2:3]
	global_load_dwordx2 v[22:23], v[2:3], off sc0 sc1
	s_waitcnt vmcnt(0)
	global_atomic_cmpswap_x2 v[2:3], v29, v[22:25], s[2:3] offset:24 sc0 sc1
	s_waitcnt vmcnt(0)
	buffer_inv sc0 sc1
	v_cmp_ne_u64_e32 vcc, v[2:3], v[24:25]
	s_and_saveexec_b64 s[12:13], vcc
	s_cbranch_execz .LBB6_166
; %bb.163:                              ;   in Loop: Header=BB6_105 Depth=1
	s_mov_b64 s[14:15], 0
.LBB6_164:                              ;   Parent Loop BB6_105 Depth=1
                                        ; =>  This Inner Loop Header: Depth=2
	s_sleep 1
	global_load_dwordx2 v[22:23], v29, s[2:3] offset:40
	global_load_dwordx2 v[30:31], v29, s[2:3]
	v_mov_b64_e32 v[24:25], v[2:3]
	s_waitcnt vmcnt(1)
	v_and_b32_e32 v2, v22, v24
	s_waitcnt vmcnt(0)
	v_mad_u64_u32 v[2:3], s[16:17], v2, 24, v[30:31]
	v_and_b32_e32 v23, v23, v25
	v_mov_b32_e32 v22, v3
	v_mad_u64_u32 v[22:23], s[16:17], v23, 24, v[22:23]
	v_mov_b32_e32 v3, v22
	global_load_dwordx2 v[22:23], v[2:3], off sc0 sc1
	s_waitcnt vmcnt(0)
	global_atomic_cmpswap_x2 v[2:3], v29, v[22:25], s[2:3] offset:24 sc0 sc1
	s_waitcnt vmcnt(0)
	buffer_inv sc0 sc1
	v_cmp_eq_u64_e32 vcc, v[2:3], v[24:25]
	s_or_b64 s[14:15], vcc, s[14:15]
	s_andn2_b64 exec, exec, s[14:15]
	s_cbranch_execnz .LBB6_164
; %bb.165:                              ;   in Loop: Header=BB6_105 Depth=1
	s_or_b64 exec, exec, s[14:15]
.LBB6_166:                              ;   in Loop: Header=BB6_105 Depth=1
	s_or_b64 exec, exec, s[12:13]
.LBB6_167:                              ;   in Loop: Header=BB6_105 Depth=1
	s_or_b64 exec, exec, s[10:11]
	global_load_dwordx2 v[30:31], v29, s[2:3] offset:40
	global_load_dwordx4 v[22:25], v29, s[2:3]
	v_readfirstlane_b32 s11, v3
	v_readfirstlane_b32 s10, v2
	s_mov_b64 s[12:13], exec
	s_waitcnt vmcnt(1)
	v_readfirstlane_b32 s14, v30
	v_readfirstlane_b32 s15, v31
	s_and_b64 s[14:15], s[14:15], s[10:11]
	s_mul_i32 s16, s15, 24
	s_mul_hi_u32 s17, s14, 24
	s_add_i32 s17, s17, s16
	s_mul_i32 s16, s14, 24
	s_waitcnt vmcnt(0)
	v_lshl_add_u64 v[30:31], v[22:23], 0, s[16:17]
	s_and_saveexec_b64 s[16:17], s[0:1]
	s_cbranch_execz .LBB6_169
; %bb.168:                              ;   in Loop: Header=BB6_105 Depth=1
	v_mov_b64_e32 v[2:3], s[12:13]
	global_store_dwordx4 v[30:31], v[2:5], off offset:8
.LBB6_169:                              ;   in Loop: Header=BB6_105 Depth=1
	s_or_b64 exec, exec, s[16:17]
	s_lshl_b64 s[12:13], s[14:15], 12
	v_lshl_add_u64 v[2:3], v[24:25], 0, s[12:13]
	v_cmp_gt_u64_e64 s[12:13], s[6:7], 56
	s_and_b64 s[12:13], s[12:13], exec
	s_cselect_b32 s12, 0, 2
	s_lshl_b32 s13, s8, 2
	s_add_i32 s13, s13, 28
	v_and_b32_e32 v6, 0xffffff1f, v6
	s_and_b32 s13, s13, 0x1e0
	v_or_b32_e32 v6, s12, v6
	v_or_b32_e32 v6, s13, v6
	v_readfirstlane_b32 s12, v2
	v_readfirstlane_b32 s13, v3
	s_nop 4
	global_store_dwordx4 v26, v[6:9], s[12:13]
	global_store_dwordx4 v26, v[10:13], s[12:13] offset:16
	global_store_dwordx4 v26, v[14:17], s[12:13] offset:32
	;; [unrolled: 1-line block ×3, first 2 shown]
	s_and_saveexec_b64 s[12:13], s[0:1]
	s_cbranch_execz .LBB6_177
; %bb.170:                              ;   in Loop: Header=BB6_105 Depth=1
	global_load_dwordx2 v[14:15], v29, s[2:3] offset:32 sc0 sc1
	global_load_dwordx2 v[6:7], v29, s[2:3] offset:40
	v_mov_b32_e32 v12, s10
	v_mov_b32_e32 v13, s11
	s_waitcnt vmcnt(0)
	v_readfirstlane_b32 s14, v6
	v_readfirstlane_b32 s15, v7
	s_and_b64 s[14:15], s[14:15], s[10:11]
	s_mul_i32 s15, s15, 24
	s_mul_hi_u32 s16, s14, 24
	s_mul_i32 s14, s14, 24
	s_add_i32 s15, s16, s15
	v_lshl_add_u64 v[10:11], v[22:23], 0, s[14:15]
	global_store_dwordx2 v[10:11], v[14:15], off
	buffer_wbl2 sc0 sc1
	s_waitcnt vmcnt(0)
	global_atomic_cmpswap_x2 v[8:9], v29, v[12:15], s[2:3] offset:32 sc0 sc1
	s_waitcnt vmcnt(0)
	v_cmp_ne_u64_e32 vcc, v[8:9], v[14:15]
	s_and_saveexec_b64 s[14:15], vcc
	s_cbranch_execz .LBB6_173
; %bb.171:                              ;   in Loop: Header=BB6_105 Depth=1
	s_mov_b64 s[16:17], 0
.LBB6_172:                              ;   Parent Loop BB6_105 Depth=1
                                        ; =>  This Inner Loop Header: Depth=2
	s_sleep 1
	global_store_dwordx2 v[10:11], v[8:9], off
	v_mov_b32_e32 v6, s10
	v_mov_b32_e32 v7, s11
	buffer_wbl2 sc0 sc1
	s_waitcnt vmcnt(0)
	global_atomic_cmpswap_x2 v[6:7], v29, v[6:9], s[2:3] offset:32 sc0 sc1
	s_waitcnt vmcnt(0)
	v_cmp_eq_u64_e32 vcc, v[6:7], v[8:9]
	s_or_b64 s[16:17], vcc, s[16:17]
	v_mov_b64_e32 v[8:9], v[6:7]
	s_andn2_b64 exec, exec, s[16:17]
	s_cbranch_execnz .LBB6_172
.LBB6_173:                              ;   in Loop: Header=BB6_105 Depth=1
	s_or_b64 exec, exec, s[14:15]
	global_load_dwordx2 v[6:7], v29, s[2:3] offset:16
	s_mov_b64 s[16:17], exec
	v_mbcnt_lo_u32_b32 v8, s16, 0
	v_mbcnt_hi_u32_b32 v8, s17, v8
	v_cmp_eq_u32_e32 vcc, 0, v8
	s_and_saveexec_b64 s[14:15], vcc
	s_cbranch_execz .LBB6_175
; %bb.174:                              ;   in Loop: Header=BB6_105 Depth=1
	s_bcnt1_i32_b64 s16, s[16:17]
	v_mov_b32_e32 v28, s16
	buffer_wbl2 sc0 sc1
	s_waitcnt vmcnt(0)
	global_atomic_add_x2 v[6:7], v[28:29], off offset:8 sc1
.LBB6_175:                              ;   in Loop: Header=BB6_105 Depth=1
	s_or_b64 exec, exec, s[14:15]
	s_waitcnt vmcnt(0)
	global_load_dwordx2 v[8:9], v[6:7], off offset:16
	s_waitcnt vmcnt(0)
	v_cmp_eq_u64_e32 vcc, 0, v[8:9]
	s_cbranch_vccnz .LBB6_177
; %bb.176:                              ;   in Loop: Header=BB6_105 Depth=1
	global_load_dword v28, v[6:7], off offset:24
	s_waitcnt vmcnt(0)
	v_readfirstlane_b32 s14, v28
	s_and_b32 m0, s14, 0xffffff
	buffer_wbl2 sc0 sc1
	global_store_dwordx2 v[8:9], v[28:29], off sc0 sc1
	s_sendmsg sendmsg(MSG_INTERRUPT)
.LBB6_177:                              ;   in Loop: Header=BB6_105 Depth=1
	s_or_b64 exec, exec, s[12:13]
	v_mov_b32_e32 v27, v29
	v_lshl_add_u64 v[2:3], v[2:3], 0, v[26:27]
	s_branch .LBB6_181
.LBB6_178:                              ;   in Loop: Header=BB6_181 Depth=2
	s_or_b64 exec, exec, s[12:13]
	v_readfirstlane_b32 s12, v6
	s_cmp_eq_u32 s12, 0
	s_cbranch_scc1 .LBB6_180
; %bb.179:                              ;   in Loop: Header=BB6_181 Depth=2
	s_sleep 1
	s_cbranch_execnz .LBB6_181
	s_branch .LBB6_183
.LBB6_180:                              ;   in Loop: Header=BB6_105 Depth=1
	s_branch .LBB6_183
.LBB6_181:                              ;   Parent Loop BB6_105 Depth=1
                                        ; =>  This Inner Loop Header: Depth=2
	v_mov_b32_e32 v6, 1
	s_and_saveexec_b64 s[12:13], s[0:1]
	s_cbranch_execz .LBB6_178
; %bb.182:                              ;   in Loop: Header=BB6_181 Depth=2
	global_load_dword v6, v[30:31], off offset:20 sc0 sc1
	s_waitcnt vmcnt(0)
	buffer_inv sc0 sc1
	v_and_b32_e32 v6, 1, v6
	s_branch .LBB6_178
.LBB6_183:                              ;   in Loop: Header=BB6_105 Depth=1
	global_load_dwordx4 v[6:9], v[2:3], off
	s_and_saveexec_b64 s[12:13], s[0:1]
	s_cbranch_execz .LBB6_104
; %bb.184:                              ;   in Loop: Header=BB6_105 Depth=1
	global_load_dwordx2 v[2:3], v29, s[2:3] offset:40
	global_load_dwordx2 v[12:13], v29, s[2:3] offset:24 sc0 sc1
	global_load_dwordx2 v[8:9], v29, s[2:3]
	s_waitcnt vmcnt(2)
	v_readfirstlane_b32 s14, v2
	v_readfirstlane_b32 s15, v3
	s_add_u32 s16, s14, 1
	s_addc_u32 s17, s15, 0
	s_add_u32 s0, s16, s10
	s_addc_u32 s1, s17, s11
	s_cmp_eq_u64 s[0:1], 0
	s_cselect_b32 s1, s17, s1
	s_cselect_b32 s0, s16, s0
	s_and_b64 s[10:11], s[0:1], s[14:15]
	s_mul_i32 s11, s11, 24
	s_mul_hi_u32 s14, s10, 24
	s_mul_i32 s10, s10, 24
	s_add_i32 s11, s14, s11
	s_waitcnt vmcnt(0)
	v_lshl_add_u64 v[2:3], v[8:9], 0, s[10:11]
	v_mov_b32_e32 v10, s0
	global_store_dwordx2 v[2:3], v[12:13], off
	v_mov_b32_e32 v11, s1
	buffer_wbl2 sc0 sc1
	s_waitcnt vmcnt(0)
	global_atomic_cmpswap_x2 v[10:11], v29, v[10:13], s[2:3] offset:24 sc0 sc1
	s_waitcnt vmcnt(0)
	v_cmp_ne_u64_e32 vcc, v[10:11], v[12:13]
	s_and_b64 exec, exec, vcc
	s_cbranch_execz .LBB6_104
; %bb.185:                              ;   in Loop: Header=BB6_105 Depth=1
	s_mov_b64 s[10:11], 0
.LBB6_186:                              ;   Parent Loop BB6_105 Depth=1
                                        ; =>  This Inner Loop Header: Depth=2
	s_sleep 1
	global_store_dwordx2 v[2:3], v[10:11], off
	v_mov_b32_e32 v8, s0
	v_mov_b32_e32 v9, s1
	buffer_wbl2 sc0 sc1
	s_waitcnt vmcnt(0)
	global_atomic_cmpswap_x2 v[8:9], v29, v[8:11], s[2:3] offset:24 sc0 sc1
	s_waitcnt vmcnt(0)
	v_cmp_eq_u64_e32 vcc, v[8:9], v[10:11]
	s_or_b64 s[10:11], vcc, s[10:11]
	v_mov_b64_e32 v[10:11], v[8:9]
	s_andn2_b64 exec, exec, s[10:11]
	s_cbranch_execnz .LBB6_186
	s_branch .LBB6_104
.LBB6_187:
	s_mov_b64 s[0:1], 0
	s_branch .LBB6_189
.LBB6_188:
	s_mov_b64 s[0:1], -1
.LBB6_189:
	s_and_b64 vcc, exec, s[0:1]
	s_cbranch_vccz .LBB6_216
; %bb.190:
	v_readfirstlane_b32 s0, v32
	s_waitcnt vmcnt(0)
	v_mov_b64_e32 v[8:9], 0
	v_cmp_eq_u32_e64 s[0:1], s0, v32
	s_and_saveexec_b64 s[4:5], s[0:1]
	s_cbranch_execz .LBB6_196
; %bb.191:
	v_mov_b32_e32 v2, 0
	global_load_dwordx2 v[6:7], v2, s[2:3] offset:24 sc0 sc1
	s_waitcnt vmcnt(0)
	buffer_inv sc0 sc1
	global_load_dwordx2 v[4:5], v2, s[2:3] offset:40
	global_load_dwordx2 v[8:9], v2, s[2:3]
	s_waitcnt vmcnt(1)
	v_and_b32_e32 v3, v4, v6
	v_and_b32_e32 v4, v5, v7
	v_mul_lo_u32 v4, v4, 24
	v_mul_hi_u32 v5, v3, 24
	v_add_u32_e32 v5, v5, v4
	v_mul_lo_u32 v4, v3, 24
	s_waitcnt vmcnt(0)
	v_lshl_add_u64 v[4:5], v[8:9], 0, v[4:5]
	global_load_dwordx2 v[4:5], v[4:5], off sc0 sc1
	s_waitcnt vmcnt(0)
	global_atomic_cmpswap_x2 v[8:9], v2, v[4:7], s[2:3] offset:24 sc0 sc1
	s_waitcnt vmcnt(0)
	buffer_inv sc0 sc1
	v_cmp_ne_u64_e32 vcc, v[8:9], v[6:7]
	s_and_saveexec_b64 s[6:7], vcc
	s_cbranch_execz .LBB6_195
; %bb.192:
	s_mov_b64 s[8:9], 0
.LBB6_193:                              ; =>This Inner Loop Header: Depth=1
	s_sleep 1
	global_load_dwordx2 v[4:5], v2, s[2:3] offset:40
	global_load_dwordx2 v[10:11], v2, s[2:3]
	v_mov_b64_e32 v[6:7], v[8:9]
	s_waitcnt vmcnt(1)
	v_and_b32_e32 v4, v4, v6
	v_and_b32_e32 v3, v5, v7
	s_waitcnt vmcnt(0)
	v_mad_u64_u32 v[4:5], s[10:11], v4, 24, v[10:11]
	v_mov_b32_e32 v8, v5
	v_mad_u64_u32 v[8:9], s[10:11], v3, 24, v[8:9]
	v_mov_b32_e32 v5, v8
	global_load_dwordx2 v[4:5], v[4:5], off sc0 sc1
	s_waitcnt vmcnt(0)
	global_atomic_cmpswap_x2 v[8:9], v2, v[4:7], s[2:3] offset:24 sc0 sc1
	s_waitcnt vmcnt(0)
	buffer_inv sc0 sc1
	v_cmp_eq_u64_e32 vcc, v[8:9], v[6:7]
	s_or_b64 s[8:9], vcc, s[8:9]
	s_andn2_b64 exec, exec, s[8:9]
	s_cbranch_execnz .LBB6_193
; %bb.194:
	s_or_b64 exec, exec, s[8:9]
.LBB6_195:
	s_or_b64 exec, exec, s[6:7]
.LBB6_196:
	s_or_b64 exec, exec, s[4:5]
	v_mov_b32_e32 v2, 0
	global_load_dwordx2 v[10:11], v2, s[2:3] offset:40
	global_load_dwordx4 v[4:7], v2, s[2:3]
	v_readfirstlane_b32 s5, v9
	v_readfirstlane_b32 s4, v8
	s_mov_b64 s[6:7], exec
	s_waitcnt vmcnt(1)
	v_readfirstlane_b32 s8, v10
	v_readfirstlane_b32 s9, v11
	s_and_b64 s[8:9], s[8:9], s[4:5]
	s_mul_i32 s10, s9, 24
	s_mul_hi_u32 s11, s8, 24
	s_add_i32 s11, s11, s10
	s_mul_i32 s10, s8, 24
	s_waitcnt vmcnt(0)
	v_lshl_add_u64 v[8:9], v[4:5], 0, s[10:11]
	s_and_saveexec_b64 s[10:11], s[0:1]
	s_cbranch_execz .LBB6_198
; %bb.197:
	v_mov_b64_e32 v[10:11], s[6:7]
	v_mov_b32_e32 v12, 2
	v_mov_b32_e32 v13, 1
	global_store_dwordx4 v[8:9], v[10:13], off offset:8
.LBB6_198:
	s_or_b64 exec, exec, s[10:11]
	s_lshl_b64 s[6:7], s[8:9], 12
	v_lshl_add_u64 v[6:7], v[6:7], 0, s[6:7]
	s_movk_i32 s6, 0xff1d
	s_mov_b32 s8, 0
	v_and_or_b32 v0, v0, s6, 34
	v_mov_b32_e32 v3, v2
	v_readfirstlane_b32 s6, v6
	v_readfirstlane_b32 s7, v7
	s_mov_b32 s9, s8
	s_mov_b32 s10, s8
	;; [unrolled: 1-line block ×3, first 2 shown]
	s_nop 1
	global_store_dwordx4 v26, v[0:3], s[6:7]
	s_nop 1
	v_mov_b64_e32 v[0:1], s[8:9]
	v_mov_b64_e32 v[2:3], s[10:11]
	global_store_dwordx4 v26, v[0:3], s[6:7] offset:16
	global_store_dwordx4 v26, v[0:3], s[6:7] offset:32
	;; [unrolled: 1-line block ×3, first 2 shown]
	s_and_saveexec_b64 s[6:7], s[0:1]
	s_cbranch_execz .LBB6_206
; %bb.199:
	v_mov_b32_e32 v6, 0
	global_load_dwordx2 v[12:13], v6, s[2:3] offset:32 sc0 sc1
	global_load_dwordx2 v[0:1], v6, s[2:3] offset:40
	v_mov_b32_e32 v10, s4
	v_mov_b32_e32 v11, s5
	s_waitcnt vmcnt(0)
	v_readfirstlane_b32 s8, v0
	v_readfirstlane_b32 s9, v1
	s_and_b64 s[8:9], s[8:9], s[4:5]
	s_mul_i32 s9, s9, 24
	s_mul_hi_u32 s10, s8, 24
	s_mul_i32 s8, s8, 24
	s_add_i32 s9, s10, s9
	v_lshl_add_u64 v[4:5], v[4:5], 0, s[8:9]
	global_store_dwordx2 v[4:5], v[12:13], off
	buffer_wbl2 sc0 sc1
	s_waitcnt vmcnt(0)
	global_atomic_cmpswap_x2 v[2:3], v6, v[10:13], s[2:3] offset:32 sc0 sc1
	s_waitcnt vmcnt(0)
	v_cmp_ne_u64_e32 vcc, v[2:3], v[12:13]
	s_and_saveexec_b64 s[8:9], vcc
	s_cbranch_execz .LBB6_202
; %bb.200:
	s_mov_b64 s[10:11], 0
.LBB6_201:                              ; =>This Inner Loop Header: Depth=1
	s_sleep 1
	global_store_dwordx2 v[4:5], v[2:3], off
	v_mov_b32_e32 v0, s4
	v_mov_b32_e32 v1, s5
	buffer_wbl2 sc0 sc1
	s_waitcnt vmcnt(0)
	global_atomic_cmpswap_x2 v[0:1], v6, v[0:3], s[2:3] offset:32 sc0 sc1
	s_waitcnt vmcnt(0)
	v_cmp_eq_u64_e32 vcc, v[0:1], v[2:3]
	s_or_b64 s[10:11], vcc, s[10:11]
	v_mov_b64_e32 v[2:3], v[0:1]
	s_andn2_b64 exec, exec, s[10:11]
	s_cbranch_execnz .LBB6_201
.LBB6_202:
	s_or_b64 exec, exec, s[8:9]
	v_mov_b32_e32 v3, 0
	global_load_dwordx2 v[0:1], v3, s[2:3] offset:16
	s_mov_b64 s[8:9], exec
	v_mbcnt_lo_u32_b32 v2, s8, 0
	v_mbcnt_hi_u32_b32 v2, s9, v2
	v_cmp_eq_u32_e32 vcc, 0, v2
	s_and_saveexec_b64 s[10:11], vcc
	s_cbranch_execz .LBB6_204
; %bb.203:
	s_bcnt1_i32_b64 s8, s[8:9]
	v_mov_b32_e32 v2, s8
	buffer_wbl2 sc0 sc1
	s_waitcnt vmcnt(0)
	global_atomic_add_x2 v[0:1], v[2:3], off offset:8 sc1
.LBB6_204:
	s_or_b64 exec, exec, s[10:11]
	s_waitcnt vmcnt(0)
	global_load_dwordx2 v[2:3], v[0:1], off offset:16
	s_waitcnt vmcnt(0)
	v_cmp_eq_u64_e32 vcc, 0, v[2:3]
	s_cbranch_vccnz .LBB6_206
; %bb.205:
	global_load_dword v0, v[0:1], off offset:24
	v_mov_b32_e32 v1, 0
	s_waitcnt vmcnt(0)
	v_readfirstlane_b32 s8, v0
	s_and_b32 m0, s8, 0xffffff
	buffer_wbl2 sc0 sc1
	global_store_dwordx2 v[2:3], v[0:1], off sc0 sc1
	s_sendmsg sendmsg(MSG_INTERRUPT)
.LBB6_206:
	s_or_b64 exec, exec, s[6:7]
	s_branch .LBB6_210
.LBB6_207:                              ;   in Loop: Header=BB6_210 Depth=1
	s_or_b64 exec, exec, s[6:7]
	v_readfirstlane_b32 s6, v0
	s_cmp_eq_u32 s6, 0
	s_cbranch_scc1 .LBB6_209
; %bb.208:                              ;   in Loop: Header=BB6_210 Depth=1
	s_sleep 1
	s_cbranch_execnz .LBB6_210
	s_branch .LBB6_212
.LBB6_209:
	s_branch .LBB6_212
.LBB6_210:                              ; =>This Inner Loop Header: Depth=1
	v_mov_b32_e32 v0, 1
	s_and_saveexec_b64 s[6:7], s[0:1]
	s_cbranch_execz .LBB6_207
; %bb.211:                              ;   in Loop: Header=BB6_210 Depth=1
	global_load_dword v0, v[8:9], off offset:20 sc0 sc1
	s_waitcnt vmcnt(0)
	buffer_inv sc0 sc1
	v_and_b32_e32 v0, 1, v0
	s_branch .LBB6_207
.LBB6_212:
	s_and_saveexec_b64 s[6:7], s[0:1]
	s_cbranch_execz .LBB6_215
; %bb.213:
	v_mov_b32_e32 v6, 0
	global_load_dwordx2 v[0:1], v6, s[2:3] offset:40
	global_load_dwordx2 v[10:11], v6, s[2:3] offset:24 sc0 sc1
	global_load_dwordx2 v[2:3], v6, s[2:3]
	s_waitcnt vmcnt(2)
	v_readfirstlane_b32 s8, v0
	v_readfirstlane_b32 s9, v1
	s_add_u32 s10, s8, 1
	s_addc_u32 s11, s9, 0
	s_add_u32 s0, s10, s4
	s_addc_u32 s1, s11, s5
	s_cmp_eq_u64 s[0:1], 0
	s_cselect_b32 s1, s11, s1
	s_cselect_b32 s0, s10, s0
	s_and_b64 s[4:5], s[0:1], s[8:9]
	s_mul_i32 s5, s5, 24
	s_mul_hi_u32 s8, s4, 24
	s_mul_i32 s4, s4, 24
	s_add_i32 s5, s8, s5
	s_waitcnt vmcnt(0)
	v_lshl_add_u64 v[4:5], v[2:3], 0, s[4:5]
	v_mov_b32_e32 v8, s0
	global_store_dwordx2 v[4:5], v[10:11], off
	v_mov_b32_e32 v9, s1
	buffer_wbl2 sc0 sc1
	s_waitcnt vmcnt(0)
	global_atomic_cmpswap_x2 v[2:3], v6, v[8:11], s[2:3] offset:24 sc0 sc1
	s_mov_b64 s[4:5], 0
	s_waitcnt vmcnt(0)
	v_cmp_ne_u64_e32 vcc, v[2:3], v[10:11]
	s_and_b64 exec, exec, vcc
	s_cbranch_execz .LBB6_215
.LBB6_214:                              ; =>This Inner Loop Header: Depth=1
	s_sleep 1
	global_store_dwordx2 v[4:5], v[2:3], off
	v_mov_b32_e32 v0, s0
	v_mov_b32_e32 v1, s1
	buffer_wbl2 sc0 sc1
	s_waitcnt vmcnt(0)
	global_atomic_cmpswap_x2 v[0:1], v6, v[0:3], s[2:3] offset:24 sc0 sc1
	s_waitcnt vmcnt(0)
	v_cmp_eq_u64_e32 vcc, v[0:1], v[2:3]
	s_or_b64 s[4:5], vcc, s[4:5]
	v_mov_b64_e32 v[2:3], v[0:1]
	s_andn2_b64 exec, exec, s[4:5]
	s_cbranch_execnz .LBB6_214
.LBB6_215:
	s_or_b64 exec, exec, s[6:7]
.LBB6_216:
	s_getpc_b64 s[0:1]
	s_add_u32 s0, s0, .str.29@rel32@lo+4
	s_addc_u32 s1, s1, .str.29@rel32@hi+12
	s_getpc_b64 s[2:3]
	s_add_u32 s2, s2, .str.19@rel32@lo+4
	s_addc_u32 s3, s3, .str.19@rel32@hi+12
	s_getpc_b64 s[4:5]
	s_add_u32 s4, s4, __PRETTY_FUNCTION__._ZN7VecsMemIjLi8192EE5fetchEi@rel32@lo+4
	s_addc_u32 s5, s5, __PRETTY_FUNCTION__._ZN7VecsMemIjLi8192EE5fetchEi@rel32@hi+12
	s_getpc_b64 s[6:7]
	s_add_u32 s6, s6, __assert_fail@rel32@lo+4
	s_addc_u32 s7, s7, __assert_fail@rel32@hi+12
	s_mov_b64 s[8:9], s[64:65]
	s_waitcnt vmcnt(0)
	v_mov_b32_e32 v0, s0
	v_mov_b32_e32 v1, s1
	;; [unrolled: 1-line block ×7, first 2 shown]
	s_swappc_b64 s[30:31], s[6:7]
	s_or_b64 s[0:1], s[70:71], exec
.LBB6_217:
	s_or_b64 exec, exec, s[24:25]
	s_andn2_b64 s[2:3], s[70:71], exec
	s_and_b64 s[0:1], s[0:1], exec
	s_or_b64 s[24:25], s[2:3], s[0:1]
	s_orn2_b64 s[0:1], s[44:45], exec
.LBB6_218:
	s_or_b64 exec, exec, s[26:27]
	s_mov_b64 s[2:3], 0
                                        ; implicit-def: $vgpr68
                                        ; implicit-def: $vgpr64_vgpr65
	s_and_saveexec_b64 s[26:27], s[0:1]
	s_cbranch_execz .LBB6_430
; %bb.219:
	flat_load_dwordx2 v[64:65], v[54:55] offset:8
	v_mov_b32_e32 v1, 0
	s_mov_b32 s11, 0
	s_mov_b64 s[8:9], 0
	v_mov_b32_e32 v82, 0
	v_mov_b32_e32 v68, v1
	s_mov_b32 s12, s11
	v_mov_b32_e32 v6, 0
	scratch_store_dwordx2 off, v[66:67], s33 offset:128
                                        ; implicit-def: $sgpr6_sgpr7
	s_branch .LBB6_221
.LBB6_220:                              ;   in Loop: Header=BB6_221 Depth=1
	s_or_b64 exec, exec, s[14:15]
	s_xor_b64 s[0:1], s[4:5], -1
	s_and_b64 s[2:3], exec, s[2:3]
	s_or_b64 s[8:9], s[2:3], s[8:9]
	s_andn2_b64 s[2:3], s[6:7], exec
	s_and_b64 s[0:1], s[0:1], exec
	s_or_b64 s[6:7], s[2:3], s[0:1]
	s_andn2_b64 exec, exec, s[8:9]
	s_cbranch_execz .LBB6_261
.LBB6_221:                              ; =>This Loop Header: Depth=1
                                        ;     Child Loop BB6_224 Depth 2
                                        ;     Child Loop BB6_229 Depth 2
                                        ;       Child Loop BB6_233 Depth 3
                                        ;     Child Loop BB6_242 Depth 2
                                        ;       Child Loop BB6_246 Depth 3
	s_mov_b32 s13, s11
	s_waitcnt vmcnt(0) lgkmcnt(0)
	v_lshl_add_u64 v[2:3], s[12:13], 2, v[64:65]
	flat_load_dword v0, v[2:3]
	s_mov_b64 s[0:1], -1
	s_waitcnt vmcnt(0) lgkmcnt(0)
	v_cmp_lt_i32_e32 vcc, -1, v0
	s_and_saveexec_b64 s[14:15], vcc
	s_cbranch_execz .LBB6_259
; %bb.222:                              ;   in Loop: Header=BB6_221 Depth=1
	s_mov_b32 s10, 0
	s_mov_b64 s[0:1], 0
	v_mov_b64_e32 v[4:5], v[70:71]
                                        ; implicit-def: $sgpr2_sgpr3
	s_branch .LBB6_224
.LBB6_223:                              ;   in Loop: Header=BB6_224 Depth=2
	s_or_b64 exec, exec, s[4:5]
	s_and_b64 s[4:5], exec, s[2:3]
	s_or_b64 s[0:1], s[4:5], s[0:1]
	s_andn2_b64 exec, exec, s[0:1]
	s_cbranch_execz .LBB6_226
.LBB6_224:                              ;   Parent Loop BB6_221 Depth=1
                                        ; =>  This Inner Loop Header: Depth=2
	flat_load_dword v8, v[4:5]
	v_mov_b32_e32 v7, s10
	s_or_b64 s[2:3], s[2:3], exec
	s_waitcnt vmcnt(0) lgkmcnt(0)
	v_and_b32_e32 v9, v8, v0
	v_cmp_ne_u32_e32 vcc, v9, v8
	s_and_saveexec_b64 s[4:5], vcc
	s_cbranch_execz .LBB6_223
; %bb.225:                              ;   in Loop: Header=BB6_224 Depth=2
	s_add_i32 s10, s10, 1
	v_cmp_eq_u32_e32 vcc, s10, v53
	s_andn2_b64 s[2:3], s[2:3], exec
	s_and_b64 s[16:17], vcc, exec
	v_lshl_add_u64 v[4:5], v[4:5], 0, 4
	s_or_b64 s[2:3], s[2:3], s[16:17]
	v_mov_b32_e32 v7, v53
	s_branch .LBB6_223
.LBB6_226:                              ;   in Loop: Header=BB6_221 Depth=1
	s_or_b64 exec, exec, s[0:1]
	v_cmp_ne_u32_e32 vcc, v7, v53
	s_mov_b64 s[0:1], -1
	s_and_saveexec_b64 s[16:17], vcc
	s_cbranch_execz .LBB6_258
; %bb.227:                              ;   in Loop: Header=BB6_221 Depth=1
	v_bitop3_b32 v8, v0, v8, v0 bitop3:0x30
	s_mov_b32 s10, 0
	v_cmp_lt_i32_e32 vcc, 0, v56
	s_mov_b64 s[18:19], 0
	s_branch .LBB6_229
.LBB6_228:                              ;   in Loop: Header=BB6_229 Depth=2
	s_or_b64 exec, exec, s[4:5]
	s_and_b64 s[0:1], exec, s[20:21]
	s_or_b64 s[18:19], s[0:1], s[18:19]
	s_andn2_b64 exec, exec, s[18:19]
	s_cbranch_execz .LBB6_239
.LBB6_229:                              ;   Parent Loop BB6_221 Depth=1
                                        ; =>  This Loop Header: Depth=2
                                        ;       Child Loop BB6_233 Depth 3
	v_cmp_ne_u32_e64 s[0:1], s10, v7
	s_mov_b64 s[20:21], -1
	s_mov_b64 s[2:3], -1
	s_and_saveexec_b64 s[44:45], s[0:1]
	s_cbranch_execz .LBB6_237
; %bb.230:                              ;   in Loop: Header=BB6_229 Depth=2
	v_mov_b32_e32 v11, 0
	s_and_saveexec_b64 s[46:47], vcc
	s_cbranch_execz .LBB6_236
; %bb.231:                              ;   in Loop: Header=BB6_229 Depth=2
	v_lshl_add_u64 v[4:5], s[10:11], 2, v[70:71]
	flat_load_dword v9, v[4:5]
	s_mov_b32 s13, 0
	s_mov_b64 s[56:57], 0
	v_mov_b64_e32 v[4:5], v[64:65]
                                        ; implicit-def: $sgpr58_sgpr59
	s_waitcnt vmcnt(0) lgkmcnt(0)
	v_not_b32_e32 v10, v9
	s_branch .LBB6_233
.LBB6_232:                              ;   in Loop: Header=BB6_233 Depth=3
	s_or_b64 exec, exec, s[2:3]
	s_and_b64 s[0:1], exec, s[58:59]
	s_or_b64 s[56:57], s[0:1], s[56:57]
	s_andn2_b64 exec, exec, s[56:57]
	s_cbranch_execz .LBB6_235
.LBB6_233:                              ;   Parent Loop BB6_221 Depth=1
                                        ;     Parent Loop BB6_229 Depth=2
                                        ; =>    This Inner Loop Header: Depth=3
	flat_load_dword v6, v[4:5]
	v_mov_b32_e32 v11, s13
	s_or_b64 s[58:59], s[58:59], exec
	s_waitcnt vmcnt(0) lgkmcnt(0)
	v_and_b32_e32 v12, v6, v9
	v_and_b32_e32 v13, v6, v10
	v_cmp_ne_u32_e64 s[2:3], v12, v9
	v_cmp_ne_u32_e64 s[4:5], v8, v13
	v_cmp_gt_i32_e64 s[0:1], 0, v6
	s_or_b64 s[2:3], s[2:3], s[4:5]
	s_or_b64 s[0:1], s[2:3], s[0:1]
	s_and_saveexec_b64 s[2:3], s[0:1]
	s_cbranch_execz .LBB6_232
; %bb.234:                              ;   in Loop: Header=BB6_233 Depth=3
	s_add_i32 s13, s13, 1
	v_cmp_eq_u32_e64 s[0:1], s13, v56
	s_andn2_b64 s[4:5], s[58:59], exec
	s_and_b64 s[0:1], s[0:1], exec
	v_lshl_add_u64 v[4:5], v[4:5], 0, 4
	s_or_b64 s[58:59], s[4:5], s[0:1]
	v_mov_b32_e32 v11, v56
	s_branch .LBB6_232
.LBB6_235:                              ;   in Loop: Header=BB6_229 Depth=2
	s_or_b64 exec, exec, s[56:57]
.LBB6_236:                              ;   in Loop: Header=BB6_229 Depth=2
	s_or_b64 exec, exec, s[46:47]
	v_cmp_ne_u32_e64 s[0:1], v11, v56
	s_orn2_b64 s[2:3], s[0:1], exec
.LBB6_237:                              ;   in Loop: Header=BB6_229 Depth=2
	s_or_b64 exec, exec, s[44:45]
	v_mov_b32_e32 v4, s10
	s_and_saveexec_b64 s[4:5], s[2:3]
	s_cbranch_execz .LBB6_228
; %bb.238:                              ;   in Loop: Header=BB6_229 Depth=2
	s_add_i32 s10, s10, 1
	v_cmp_eq_u32_e64 s[0:1], s10, v53
	s_orn2_b64 s[20:21], s[0:1], exec
	v_mov_b32_e32 v4, v53
	s_branch .LBB6_228
.LBB6_239:                              ;   in Loop: Header=BB6_221 Depth=1
	s_or_b64 exec, exec, s[18:19]
	v_cmp_eq_u32_e32 vcc, v4, v53
	s_mov_b64 s[0:1], -1
	s_and_saveexec_b64 s[4:5], vcc
	s_cbranch_execz .LBB6_257
; %bb.240:                              ;   in Loop: Header=BB6_221 Depth=1
	v_ashrrev_i32_e32 v69, 31, v68
	v_add_u32_e32 v82, 1, v68
	v_lshl_add_u64 v[4:5], v[68:69], 2, v[66:67]
	v_or_b32_e32 v0, 0x80000000, v0
	s_mov_b32 s10, 0
	s_mov_b64 s[20:21], 0
	flat_store_dword v[4:5], v8
	flat_store_dword v[2:3], v0
                                        ; implicit-def: $sgpr18_sgpr19
	s_branch .LBB6_242
.LBB6_241:                              ;   in Loop: Header=BB6_242 Depth=2
	s_or_b64 exec, exec, s[46:47]
	s_xor_b64 s[0:1], s[2:3], -1
	s_and_b64 s[2:3], exec, s[44:45]
	s_or_b64 s[20:21], s[2:3], s[20:21]
	s_andn2_b64 s[2:3], s[18:19], exec
	s_and_b64 s[0:1], s[0:1], exec
	s_or_b64 s[18:19], s[2:3], s[0:1]
	s_andn2_b64 exec, exec, s[20:21]
	s_cbranch_execz .LBB6_254
.LBB6_242:                              ;   Parent Loop BB6_221 Depth=1
                                        ; =>  This Loop Header: Depth=2
                                        ;       Child Loop BB6_246 Depth 3
	v_cmp_ne_u32_e32 vcc, s10, v7
	s_mov_b64 s[44:45], -1
	s_mov_b64 s[0:1], -1
	s_and_saveexec_b64 s[46:47], vcc
	s_cbranch_execz .LBB6_252
; %bb.243:                              ;   in Loop: Header=BB6_242 Depth=2
	flat_load_dword v0, v[54:55] offset:4
	v_mov_b64_e32 v[2:3], 0
	s_mov_b64 s[0:1], 0
	s_waitcnt vmcnt(0) lgkmcnt(0)
	v_cmp_lt_i32_e32 vcc, 0, v0
	s_and_saveexec_b64 s[56:57], vcc
	s_cbranch_execz .LBB6_249
; %bb.244:                              ;   in Loop: Header=BB6_242 Depth=2
	v_lshl_add_u64 v[2:3], s[10:11], 2, v[70:71]
	flat_load_dword v9, v[2:3]
	s_mov_b64 s[58:59], 0
	v_mov_b64_e32 v[4:5], v[64:65]
	s_mov_b64 s[76:77], 0
                                        ; implicit-def: $sgpr60_sgpr61
                                        ; implicit-def: $sgpr74_sgpr75
                                        ; implicit-def: $sgpr72_sgpr73
	s_waitcnt vmcnt(0) lgkmcnt(0)
	v_not_b32_e32 v10, v9
	s_branch .LBB6_246
.LBB6_245:                              ;   in Loop: Header=BB6_246 Depth=3
	s_or_b64 exec, exec, s[0:1]
	s_and_b64 s[0:1], exec, s[74:75]
	s_or_b64 s[58:59], s[0:1], s[58:59]
	s_andn2_b64 s[0:1], s[60:61], exec
	s_and_b64 s[2:3], s[72:73], exec
	s_or_b64 s[60:61], s[0:1], s[2:3]
	s_andn2_b64 exec, exec, s[58:59]
	s_cbranch_execz .LBB6_248
.LBB6_246:                              ;   Parent Loop BB6_221 Depth=1
                                        ;     Parent Loop BB6_242 Depth=2
                                        ; =>    This Inner Loop Header: Depth=3
	flat_load_dword v6, v[4:5]
	v_mov_b64_e32 v[2:3], s[76:77]
	s_or_b64 s[72:73], s[72:73], exec
	s_or_b64 s[74:75], s[74:75], exec
	s_waitcnt vmcnt(0) lgkmcnt(0)
	v_and_b32_e32 v11, v6, v9
	v_and_b32_e32 v12, v6, v10
	v_cmp_ne_u32_e64 s[0:1], v11, v9
	v_cmp_ne_u32_e64 s[2:3], v8, v12
	v_cmp_gt_i32_e32 vcc, 0, v6
	s_or_b64 s[0:1], s[0:1], s[2:3]
	s_or_b64 s[2:3], s[0:1], vcc
	s_and_saveexec_b64 s[0:1], s[2:3]
	s_cbranch_execz .LBB6_245
; %bb.247:                              ;   in Loop: Header=BB6_246 Depth=3
	s_add_u32 s76, s76, 1
	v_cmp_eq_u32_e32 vcc, s76, v0
	s_addc_u32 s77, s77, 0
	s_andn2_b64 s[2:3], s[74:75], exec
	s_and_b64 s[74:75], vcc, exec
	v_lshl_add_u64 v[4:5], v[4:5], 0, 4
	s_andn2_b64 s[72:73], s[72:73], exec
	s_or_b64 s[74:75], s[2:3], s[74:75]
	v_mov_b64_e32 v[2:3], v[0:1]
	s_branch .LBB6_245
.LBB6_248:                              ;   in Loop: Header=BB6_242 Depth=2
	s_or_b64 exec, exec, s[58:59]
	s_and_b64 s[0:1], s[60:61], exec
.LBB6_249:                              ;   in Loop: Header=BB6_242 Depth=2
	s_or_b64 exec, exec, s[56:57]
	s_mov_b64 s[2:3], 0
	s_and_saveexec_b64 s[56:57], s[0:1]
	s_cbranch_execz .LBB6_251
; %bb.250:                              ;   in Loop: Header=BB6_242 Depth=2
	s_mov_b64 s[2:3], exec
	v_or_b32_e32 v0, 0x80000000, v6
	v_lshl_add_u64 v[2:3], v[2:3], 2, v[64:65]
	flat_store_dword v[2:3], v0
.LBB6_251:                              ;   in Loop: Header=BB6_242 Depth=2
	s_or_b64 exec, exec, s[56:57]
	s_orn2_b64 s[0:1], s[2:3], exec
.LBB6_252:                              ;   in Loop: Header=BB6_242 Depth=2
	s_or_b64 exec, exec, s[46:47]
	s_mov_b64 s[2:3], -1
	s_and_saveexec_b64 s[46:47], s[0:1]
	s_cbranch_execz .LBB6_241
; %bb.253:                              ;   in Loop: Header=BB6_242 Depth=2
	s_add_i32 s10, s10, 1
	v_cmp_eq_u32_e32 vcc, s10, v53
	s_xor_b64 s[2:3], exec, -1
	s_orn2_b64 s[44:45], vcc, exec
	s_branch .LBB6_241
.LBB6_254:                              ;   in Loop: Header=BB6_221 Depth=1
	s_or_b64 exec, exec, s[20:21]
	s_mov_b64 s[0:1], 0
                                        ; implicit-def: $vgpr56
	s_and_saveexec_b64 s[2:3], s[18:19]
	s_xor_b64 s[2:3], exec, s[2:3]
	s_cbranch_execz .LBB6_256
; %bb.255:                              ;   in Loop: Header=BB6_221 Depth=1
	flat_load_dword v56, v[54:55] offset:4
	s_mov_b64 s[0:1], exec
.LBB6_256:                              ;   in Loop: Header=BB6_221 Depth=1
	s_or_b64 exec, exec, s[2:3]
	s_orn2_b64 s[0:1], s[0:1], exec
	v_mov_b32_e32 v68, v82
.LBB6_257:                              ;   in Loop: Header=BB6_221 Depth=1
	s_or_b64 exec, exec, s[4:5]
	s_orn2_b64 s[0:1], s[0:1], exec
.LBB6_258:                              ;   in Loop: Header=BB6_221 Depth=1
	s_or_b64 exec, exec, s[16:17]
	s_orn2_b64 s[0:1], s[0:1], exec
.LBB6_259:                              ;   in Loop: Header=BB6_221 Depth=1
	s_or_b64 exec, exec, s[14:15]
	s_mov_b64 s[2:3], -1
	s_mov_b64 s[4:5], -1
	s_and_saveexec_b64 s[14:15], s[0:1]
	s_cbranch_execz .LBB6_220
; %bb.260:                              ;   in Loop: Header=BB6_221 Depth=1
	s_add_i32 s12, s12, 1
	s_waitcnt vmcnt(0) lgkmcnt(0)
	v_cmp_ge_i32_e32 vcc, s12, v56
	s_xor_b64 s[4:5], exec, -1
	s_orn2_b64 s[2:3], vcc, exec
	s_branch .LBB6_220
.LBB6_261:
	s_or_b64 exec, exec, s[8:9]
	s_mov_b64 s[46:47], 0
	s_mov_b64 s[56:57], s[24:25]
	s_and_saveexec_b64 s[0:1], s[6:7]
	s_xor_b64 s[44:45], exec, s[0:1]
	s_cbranch_execz .LBB6_427
; %bb.262:
	v_mul_lo_u32 v0, v68, v53
	s_waitcnt vmcnt(0) lgkmcnt(0)
	v_sub_u32_e32 v70, v56, v0
	v_mov_b32_e32 v0, 0
	v_cmp_lt_i32_e32 vcc, 0, v70
	s_mov_b64 s[0:1], -1
	v_mov_b64_e32 v[80:81], 0
	s_mov_b64 s[58:59], s[24:25]
	scratch_store_dword off, v82, s33 offset:124
	scratch_store_dword off, v0, s33 offset:140
	s_and_saveexec_b64 s[46:47], vcc
	s_cbranch_execz .LBB6_414
; %bb.263:
	flat_load_dword v0, v[58:59]
	s_movk_i32 s0, 0x2001
	s_mov_b64 s[56:57], 0
	v_mov_b64_e32 v[80:81], 0
	s_waitcnt vmcnt(0) lgkmcnt(0)
	v_add_u32_e32 v0, v0, v70
	v_cmp_gt_i32_e32 vcc, s0, v0
	s_and_saveexec_b64 s[0:1], vcc
	s_xor_b64 s[0:1], exec, s[0:1]
	s_cbranch_execz .LBB6_265
; %bb.264:
	v_ashrrev_i32_e32 v1, 31, v0
	v_mov_b32_e32 v71, 0
	flat_store_dword v[58:59], v0
	v_lshl_add_u64 v[0:1], v[0:1], 2, v[58:59]
	v_lshlrev_b64 v[2:3], 2, v[70:71]
	v_sub_co_u32_e32 v0, vcc, v0, v2
	s_mov_b64 s[56:57], exec
	s_nop 0
	v_subb_co_u32_e32 v1, vcc, v1, v3, vcc
	v_lshl_add_u64 v[80:81], v[0:1], 0, 4
.LBB6_265:
	s_or_saveexec_b64 s[58:59], s[0:1]
	s_mov_b64 s[0:1], s[24:25]
	s_xor_b64 exec, exec, s[58:59]
	s_cbranch_execz .LBB6_413
; %bb.266:
	s_load_dwordx2 s[2:3], s[64:65], 0x50
	v_mbcnt_lo_u32_b32 v0, -1, 0
	v_mbcnt_hi_u32_b32 v32, -1, v0
	v_mov_b64_e32 v[4:5], 0
	v_readfirstlane_b32 s0, v32
	s_nop 1
	v_cmp_eq_u32_e64 s[0:1], s0, v32
	s_and_saveexec_b64 s[4:5], s[0:1]
	s_cbranch_execz .LBB6_272
; %bb.267:
	v_mov_b32_e32 v0, 0
	s_waitcnt lgkmcnt(0)
	global_load_dwordx2 v[6:7], v0, s[2:3] offset:24 sc0 sc1
	s_waitcnt vmcnt(0)
	buffer_inv sc0 sc1
	global_load_dwordx2 v[2:3], v0, s[2:3] offset:40
	global_load_dwordx2 v[4:5], v0, s[2:3]
	s_waitcnt vmcnt(1)
	v_and_b32_e32 v1, v2, v6
	v_and_b32_e32 v2, v3, v7
	v_mul_lo_u32 v2, v2, 24
	v_mul_hi_u32 v3, v1, 24
	v_add_u32_e32 v3, v3, v2
	v_mul_lo_u32 v2, v1, 24
	s_waitcnt vmcnt(0)
	v_lshl_add_u64 v[2:3], v[4:5], 0, v[2:3]
	global_load_dwordx2 v[4:5], v[2:3], off sc0 sc1
	s_waitcnt vmcnt(0)
	global_atomic_cmpswap_x2 v[4:5], v0, v[4:7], s[2:3] offset:24 sc0 sc1
	s_waitcnt vmcnt(0)
	buffer_inv sc0 sc1
	v_cmp_ne_u64_e32 vcc, v[4:5], v[6:7]
	s_and_saveexec_b64 s[6:7], vcc
	s_cbranch_execz .LBB6_271
; %bb.268:
	s_mov_b64 s[8:9], 0
.LBB6_269:                              ; =>This Inner Loop Header: Depth=1
	s_sleep 1
	global_load_dwordx2 v[2:3], v0, s[2:3] offset:40
	global_load_dwordx2 v[8:9], v0, s[2:3]
	v_mov_b64_e32 v[6:7], v[4:5]
	s_waitcnt vmcnt(1)
	v_and_b32_e32 v2, v2, v6
	v_and_b32_e32 v1, v3, v7
	s_waitcnt vmcnt(0)
	v_mad_u64_u32 v[2:3], s[10:11], v2, 24, v[8:9]
	v_mov_b32_e32 v4, v3
	v_mad_u64_u32 v[4:5], s[10:11], v1, 24, v[4:5]
	v_mov_b32_e32 v3, v4
	global_load_dwordx2 v[4:5], v[2:3], off sc0 sc1
	s_waitcnt vmcnt(0)
	global_atomic_cmpswap_x2 v[4:5], v0, v[4:7], s[2:3] offset:24 sc0 sc1
	s_waitcnt vmcnt(0)
	buffer_inv sc0 sc1
	v_cmp_eq_u64_e32 vcc, v[4:5], v[6:7]
	s_or_b64 s[8:9], vcc, s[8:9]
	s_andn2_b64 exec, exec, s[8:9]
	s_cbranch_execnz .LBB6_269
; %bb.270:
	s_or_b64 exec, exec, s[8:9]
.LBB6_271:
	s_or_b64 exec, exec, s[6:7]
.LBB6_272:
	s_or_b64 exec, exec, s[4:5]
	v_mov_b32_e32 v27, 0
	s_waitcnt lgkmcnt(0)
	global_load_dwordx2 v[6:7], v27, s[2:3] offset:40
	global_load_dwordx4 v[0:3], v27, s[2:3]
	v_readfirstlane_b32 s5, v5
	v_readfirstlane_b32 s4, v4
	s_mov_b64 s[6:7], exec
	s_waitcnt vmcnt(0)
	v_readfirstlane_b32 s8, v6
	v_readfirstlane_b32 s9, v7
	s_and_b64 s[8:9], s[8:9], s[4:5]
	s_mul_i32 s10, s9, 24
	s_mul_hi_u32 s11, s8, 24
	s_add_i32 s11, s11, s10
	s_mul_i32 s10, s8, 24
	v_lshl_add_u64 v[4:5], v[0:1], 0, s[10:11]
	s_and_saveexec_b64 s[10:11], s[0:1]
	s_cbranch_execz .LBB6_274
; %bb.273:
	v_mov_b64_e32 v[6:7], s[6:7]
	v_mov_b32_e32 v8, 2
	v_mov_b32_e32 v9, 1
	global_store_dwordx4 v[4:5], v[6:9], off offset:8
.LBB6_274:
	s_or_b64 exec, exec, s[10:11]
	s_lshl_b64 s[6:7], s[8:9], 12
	v_lshl_add_u64 v[6:7], v[2:3], 0, s[6:7]
	s_mov_b32 s8, 0
	v_lshlrev_b32_e32 v26, 6, v32
	v_mov_b32_e32 v8, 33
	v_mov_b32_e32 v9, v27
	;; [unrolled: 1-line block ×4, first 2 shown]
	v_readfirstlane_b32 s6, v6
	v_readfirstlane_b32 s7, v7
	s_mov_b32 s9, s8
	s_mov_b32 s10, s8
	;; [unrolled: 1-line block ×3, first 2 shown]
	s_nop 1
	global_store_dwordx4 v26, v[8:11], s[6:7]
	s_nop 1
	v_mov_b64_e32 v[8:9], s[8:9]
	v_mov_b64_e32 v[10:11], s[10:11]
	global_store_dwordx4 v26, v[8:11], s[6:7] offset:16
	global_store_dwordx4 v26, v[8:11], s[6:7] offset:32
	;; [unrolled: 1-line block ×3, first 2 shown]
	s_and_saveexec_b64 s[6:7], s[0:1]
	s_cbranch_execz .LBB6_282
; %bb.275:
	v_mov_b32_e32 v10, 0
	global_load_dwordx2 v[14:15], v10, s[2:3] offset:32 sc0 sc1
	global_load_dwordx2 v[2:3], v10, s[2:3] offset:40
	v_mov_b32_e32 v12, s4
	v_mov_b32_e32 v13, s5
	s_waitcnt vmcnt(0)
	v_and_b32_e32 v2, s4, v2
	v_and_b32_e32 v3, s5, v3
	v_mul_lo_u32 v3, v3, 24
	v_mul_hi_u32 v8, v2, 24
	v_mul_lo_u32 v2, v2, 24
	v_add_u32_e32 v3, v8, v3
	v_lshl_add_u64 v[8:9], v[0:1], 0, v[2:3]
	global_store_dwordx2 v[8:9], v[14:15], off
	buffer_wbl2 sc0 sc1
	s_waitcnt vmcnt(0)
	global_atomic_cmpswap_x2 v[2:3], v10, v[12:15], s[2:3] offset:32 sc0 sc1
	s_waitcnt vmcnt(0)
	v_cmp_ne_u64_e32 vcc, v[2:3], v[14:15]
	s_and_saveexec_b64 s[8:9], vcc
	s_cbranch_execz .LBB6_278
; %bb.276:
	s_mov_b64 s[10:11], 0
.LBB6_277:                              ; =>This Inner Loop Header: Depth=1
	s_sleep 1
	global_store_dwordx2 v[8:9], v[2:3], off
	v_mov_b32_e32 v0, s4
	v_mov_b32_e32 v1, s5
	buffer_wbl2 sc0 sc1
	s_waitcnt vmcnt(0)
	global_atomic_cmpswap_x2 v[0:1], v10, v[0:3], s[2:3] offset:32 sc0 sc1
	s_waitcnt vmcnt(0)
	v_cmp_eq_u64_e32 vcc, v[0:1], v[2:3]
	s_or_b64 s[10:11], vcc, s[10:11]
	v_mov_b64_e32 v[2:3], v[0:1]
	s_andn2_b64 exec, exec, s[10:11]
	s_cbranch_execnz .LBB6_277
.LBB6_278:
	s_or_b64 exec, exec, s[8:9]
	v_mov_b32_e32 v3, 0
	global_load_dwordx2 v[0:1], v3, s[2:3] offset:16
	s_mov_b64 s[8:9], exec
	v_mbcnt_lo_u32_b32 v2, s8, 0
	v_mbcnt_hi_u32_b32 v2, s9, v2
	v_cmp_eq_u32_e32 vcc, 0, v2
	s_and_saveexec_b64 s[10:11], vcc
	s_cbranch_execz .LBB6_280
; %bb.279:
	s_bcnt1_i32_b64 s8, s[8:9]
	v_mov_b32_e32 v2, s8
	buffer_wbl2 sc0 sc1
	s_waitcnt vmcnt(0)
	global_atomic_add_x2 v[0:1], v[2:3], off offset:8 sc1
.LBB6_280:
	s_or_b64 exec, exec, s[10:11]
	s_waitcnt vmcnt(0)
	global_load_dwordx2 v[2:3], v[0:1], off offset:16
	s_waitcnt vmcnt(0)
	v_cmp_eq_u64_e32 vcc, 0, v[2:3]
	s_cbranch_vccnz .LBB6_282
; %bb.281:
	global_load_dword v0, v[0:1], off offset:24
	v_mov_b32_e32 v1, 0
	s_waitcnt vmcnt(0)
	v_readfirstlane_b32 s8, v0
	s_and_b32 m0, s8, 0xffffff
	buffer_wbl2 sc0 sc1
	global_store_dwordx2 v[2:3], v[0:1], off sc0 sc1
	s_sendmsg sendmsg(MSG_INTERRUPT)
.LBB6_282:
	s_or_b64 exec, exec, s[6:7]
	v_lshl_add_u64 v[0:1], v[6:7], 0, v[26:27]
	s_branch .LBB6_286
.LBB6_283:                              ;   in Loop: Header=BB6_286 Depth=1
	s_or_b64 exec, exec, s[6:7]
	v_readfirstlane_b32 s6, v2
	s_cmp_eq_u32 s6, 0
	s_cbranch_scc1 .LBB6_285
; %bb.284:                              ;   in Loop: Header=BB6_286 Depth=1
	s_sleep 1
	s_cbranch_execnz .LBB6_286
	s_branch .LBB6_288
.LBB6_285:
	s_branch .LBB6_288
.LBB6_286:                              ; =>This Inner Loop Header: Depth=1
	v_mov_b32_e32 v2, 1
	s_and_saveexec_b64 s[6:7], s[0:1]
	s_cbranch_execz .LBB6_283
; %bb.287:                              ;   in Loop: Header=BB6_286 Depth=1
	global_load_dword v2, v[4:5], off offset:20 sc0 sc1
	s_waitcnt vmcnt(0)
	buffer_inv sc0 sc1
	v_and_b32_e32 v2, 1, v2
	s_branch .LBB6_283
.LBB6_288:
	global_load_dwordx2 v[0:1], v[0:1], off
	s_and_saveexec_b64 s[6:7], s[0:1]
	s_cbranch_execz .LBB6_291
; %bb.289:
	v_mov_b32_e32 v8, 0
	global_load_dwordx2 v[2:3], v8, s[2:3] offset:40
	global_load_dwordx2 v[12:13], v8, s[2:3] offset:24 sc0 sc1
	global_load_dwordx2 v[4:5], v8, s[2:3]
	s_waitcnt vmcnt(2)
	v_readfirstlane_b32 s8, v2
	v_readfirstlane_b32 s9, v3
	s_add_u32 s10, s8, 1
	s_addc_u32 s11, s9, 0
	s_add_u32 s0, s10, s4
	s_addc_u32 s1, s11, s5
	s_cmp_eq_u64 s[0:1], 0
	s_cselect_b32 s1, s11, s1
	s_cselect_b32 s0, s10, s0
	s_and_b64 s[4:5], s[0:1], s[8:9]
	s_mul_i32 s5, s5, 24
	s_mul_hi_u32 s8, s4, 24
	s_mul_i32 s4, s4, 24
	s_add_i32 s5, s8, s5
	s_waitcnt vmcnt(0)
	v_lshl_add_u64 v[6:7], v[4:5], 0, s[4:5]
	v_mov_b32_e32 v10, s0
	global_store_dwordx2 v[6:7], v[12:13], off
	v_mov_b32_e32 v11, s1
	buffer_wbl2 sc0 sc1
	s_waitcnt vmcnt(0)
	global_atomic_cmpswap_x2 v[4:5], v8, v[10:13], s[2:3] offset:24 sc0 sc1
	s_mov_b64 s[4:5], 0
	s_waitcnt vmcnt(0)
	v_cmp_ne_u64_e32 vcc, v[4:5], v[12:13]
	s_and_b64 exec, exec, vcc
	s_cbranch_execz .LBB6_291
.LBB6_290:                              ; =>This Inner Loop Header: Depth=1
	s_sleep 1
	global_store_dwordx2 v[6:7], v[4:5], off
	v_mov_b32_e32 v2, s0
	v_mov_b32_e32 v3, s1
	buffer_wbl2 sc0 sc1
	s_waitcnt vmcnt(0)
	global_atomic_cmpswap_x2 v[2:3], v8, v[2:5], s[2:3] offset:24 sc0 sc1
	s_waitcnt vmcnt(0)
	v_cmp_eq_u64_e32 vcc, v[2:3], v[4:5]
	s_or_b64 s[4:5], vcc, s[4:5]
	v_mov_b64_e32 v[4:5], v[2:3]
	s_andn2_b64 exec, exec, s[4:5]
	s_cbranch_execnz .LBB6_290
.LBB6_291:
	s_or_b64 exec, exec, s[6:7]
	s_getpc_b64 s[4:5]
	s_add_u32 s4, s4, .str.28@rel32@lo+4
	s_addc_u32 s5, s5, .str.28@rel32@hi+12
	s_cmp_lg_u64 s[4:5], 0
	s_cbranch_scc0 .LBB6_384
; %bb.292:
	s_waitcnt vmcnt(0)
	v_and_b32_e32 v6, -3, v0
	v_mov_b32_e32 v7, v1
	s_mov_b64 s[6:7], 35
	v_mov_b32_e32 v29, 0
	v_mov_b32_e32 v4, 2
	;; [unrolled: 1-line block ×3, first 2 shown]
	s_branch .LBB6_294
.LBB6_293:                              ;   in Loop: Header=BB6_294 Depth=1
	s_or_b64 exec, exec, s[12:13]
	s_sub_u32 s6, s6, s8
	s_subb_u32 s7, s7, s9
	s_add_u32 s4, s4, s8
	s_addc_u32 s5, s5, s9
	s_cmp_lg_u64 s[6:7], 0
	s_cbranch_scc0 .LBB6_383
.LBB6_294:                              ; =>This Loop Header: Depth=1
                                        ;     Child Loop BB6_297 Depth 2
                                        ;     Child Loop BB6_306 Depth 2
	;; [unrolled: 1-line block ×11, first 2 shown]
	v_cmp_lt_u64_e64 s[0:1], s[6:7], 56
	s_and_b64 s[0:1], s[0:1], exec
	s_cselect_b32 s9, s7, 0
	s_cselect_b32 s8, s6, 56
	v_cmp_gt_u64_e64 s[10:11], s[6:7], 7
	s_add_u32 s0, s4, 8
	s_addc_u32 s1, s5, 0
	s_and_b64 vcc, exec, s[10:11]
	s_cbranch_vccnz .LBB6_298
; %bb.295:                              ;   in Loop: Header=BB6_294 Depth=1
	s_cmp_eq_u64 s[6:7], 0
	s_cbranch_scc1 .LBB6_299
; %bb.296:                              ;   in Loop: Header=BB6_294 Depth=1
	s_lshl_b64 s[0:1], s[8:9], 3
	s_mov_b64 s[10:11], 0
	s_waitcnt vmcnt(0)
	v_mov_b64_e32 v[8:9], 0
	s_mov_b64 s[12:13], s[4:5]
.LBB6_297:                              ;   Parent Loop BB6_294 Depth=1
                                        ; =>  This Inner Loop Header: Depth=2
	global_load_ubyte v2, v29, s[12:13]
	s_waitcnt vmcnt(0)
	v_and_b32_e32 v28, 0xffff, v2
	v_lshlrev_b64 v[2:3], s10, v[28:29]
	s_add_u32 s10, s10, 8
	s_addc_u32 s11, s11, 0
	s_add_u32 s12, s12, 1
	s_addc_u32 s13, s13, 0
	v_or_b32_e32 v8, v2, v8
	s_cmp_lg_u32 s0, s10
	v_or_b32_e32 v9, v3, v9
	s_cbranch_scc1 .LBB6_297
	s_branch .LBB6_300
.LBB6_298:                              ;   in Loop: Header=BB6_294 Depth=1
	s_mov_b64 s[10:11], -1
	s_branch .LBB6_301
.LBB6_299:                              ;   in Loop: Header=BB6_294 Depth=1
	s_waitcnt vmcnt(0)
	v_mov_b64_e32 v[8:9], 0
.LBB6_300:                              ;   in Loop: Header=BB6_294 Depth=1
	s_mov_b64 s[10:11], 0
	s_mov_b64 s[0:1], s[4:5]
.LBB6_301:                              ;   in Loop: Header=BB6_294 Depth=1
	s_andn2_b64 vcc, exec, s[10:11]
	s_mov_b32 s14, 0
	s_cbranch_vccnz .LBB6_303
; %bb.302:                              ;   in Loop: Header=BB6_294 Depth=1
	global_load_dwordx2 v[8:9], v29, s[4:5]
	s_add_i32 s14, s8, -8
.LBB6_303:                              ;   in Loop: Header=BB6_294 Depth=1
	s_add_u32 s10, s0, 8
	s_addc_u32 s11, s1, 0
	s_cmp_gt_u32 s14, 7
	s_cbranch_scc1 .LBB6_307
; %bb.304:                              ;   in Loop: Header=BB6_294 Depth=1
	s_cmp_eq_u32 s14, 0
	s_cbranch_scc1 .LBB6_308
; %bb.305:                              ;   in Loop: Header=BB6_294 Depth=1
	s_mov_b64 s[10:11], 0
	v_mov_b64_e32 v[10:11], 0
	s_mov_b64 s[12:13], 0
.LBB6_306:                              ;   Parent Loop BB6_294 Depth=1
                                        ; =>  This Inner Loop Header: Depth=2
	s_add_u32 s16, s0, s12
	s_addc_u32 s17, s1, s13
	global_load_ubyte v2, v29, s[16:17]
	s_add_u32 s12, s12, 1
	s_addc_u32 s13, s13, 0
	s_waitcnt vmcnt(0)
	v_and_b32_e32 v28, 0xffff, v2
	v_lshlrev_b64 v[2:3], s10, v[28:29]
	s_add_u32 s10, s10, 8
	s_addc_u32 s11, s11, 0
	v_or_b32_e32 v10, v2, v10
	s_cmp_lg_u32 s14, s12
	v_or_b32_e32 v11, v3, v11
	s_cbranch_scc1 .LBB6_306
	s_branch .LBB6_309
.LBB6_307:                              ;   in Loop: Header=BB6_294 Depth=1
	s_mov_b64 s[12:13], -1
                                        ; implicit-def: $vgpr10_vgpr11
	s_branch .LBB6_310
.LBB6_308:                              ;   in Loop: Header=BB6_294 Depth=1
	v_mov_b64_e32 v[10:11], 0
.LBB6_309:                              ;   in Loop: Header=BB6_294 Depth=1
	s_mov_b64 s[12:13], 0
	s_mov_b64 s[10:11], s[0:1]
.LBB6_310:                              ;   in Loop: Header=BB6_294 Depth=1
	s_andn2_b64 vcc, exec, s[12:13]
	s_mov_b32 s15, 0
	s_cbranch_vccnz .LBB6_312
; %bb.311:                              ;   in Loop: Header=BB6_294 Depth=1
	global_load_dwordx2 v[10:11], v29, s[0:1]
	s_add_i32 s15, s14, -8
.LBB6_312:                              ;   in Loop: Header=BB6_294 Depth=1
	s_add_u32 s0, s10, 8
	s_addc_u32 s1, s11, 0
	s_cmp_gt_u32 s15, 7
	s_cbranch_scc1 .LBB6_316
; %bb.313:                              ;   in Loop: Header=BB6_294 Depth=1
	s_cmp_eq_u32 s15, 0
	s_cbranch_scc1 .LBB6_317
; %bb.314:                              ;   in Loop: Header=BB6_294 Depth=1
	s_mov_b64 s[0:1], 0
	v_mov_b64_e32 v[12:13], 0
	s_mov_b64 s[12:13], 0
.LBB6_315:                              ;   Parent Loop BB6_294 Depth=1
                                        ; =>  This Inner Loop Header: Depth=2
	s_add_u32 s16, s10, s12
	s_addc_u32 s17, s11, s13
	global_load_ubyte v2, v29, s[16:17]
	s_add_u32 s12, s12, 1
	s_addc_u32 s13, s13, 0
	s_waitcnt vmcnt(0)
	v_and_b32_e32 v28, 0xffff, v2
	v_lshlrev_b64 v[2:3], s0, v[28:29]
	s_add_u32 s0, s0, 8
	s_addc_u32 s1, s1, 0
	v_or_b32_e32 v12, v2, v12
	s_cmp_lg_u32 s15, s12
	v_or_b32_e32 v13, v3, v13
	s_cbranch_scc1 .LBB6_315
	s_branch .LBB6_318
.LBB6_316:                              ;   in Loop: Header=BB6_294 Depth=1
	s_mov_b64 s[12:13], -1
	s_branch .LBB6_319
.LBB6_317:                              ;   in Loop: Header=BB6_294 Depth=1
	v_mov_b64_e32 v[12:13], 0
.LBB6_318:                              ;   in Loop: Header=BB6_294 Depth=1
	s_mov_b64 s[12:13], 0
	s_mov_b64 s[0:1], s[10:11]
.LBB6_319:                              ;   in Loop: Header=BB6_294 Depth=1
	s_andn2_b64 vcc, exec, s[12:13]
	s_mov_b32 s14, 0
	s_cbranch_vccnz .LBB6_321
; %bb.320:                              ;   in Loop: Header=BB6_294 Depth=1
	global_load_dwordx2 v[12:13], v29, s[10:11]
	s_add_i32 s14, s15, -8
.LBB6_321:                              ;   in Loop: Header=BB6_294 Depth=1
	s_add_u32 s10, s0, 8
	s_addc_u32 s11, s1, 0
	s_cmp_gt_u32 s14, 7
	s_cbranch_scc1 .LBB6_325
; %bb.322:                              ;   in Loop: Header=BB6_294 Depth=1
	s_cmp_eq_u32 s14, 0
	s_cbranch_scc1 .LBB6_326
; %bb.323:                              ;   in Loop: Header=BB6_294 Depth=1
	s_mov_b64 s[10:11], 0
	v_mov_b64_e32 v[14:15], 0
	s_mov_b64 s[12:13], 0
.LBB6_324:                              ;   Parent Loop BB6_294 Depth=1
                                        ; =>  This Inner Loop Header: Depth=2
	s_add_u32 s16, s0, s12
	s_addc_u32 s17, s1, s13
	global_load_ubyte v2, v29, s[16:17]
	s_add_u32 s12, s12, 1
	s_addc_u32 s13, s13, 0
	s_waitcnt vmcnt(0)
	v_and_b32_e32 v28, 0xffff, v2
	v_lshlrev_b64 v[2:3], s10, v[28:29]
	s_add_u32 s10, s10, 8
	s_addc_u32 s11, s11, 0
	v_or_b32_e32 v14, v2, v14
	s_cmp_lg_u32 s14, s12
	v_or_b32_e32 v15, v3, v15
	s_cbranch_scc1 .LBB6_324
	s_branch .LBB6_327
.LBB6_325:                              ;   in Loop: Header=BB6_294 Depth=1
	s_mov_b64 s[12:13], -1
                                        ; implicit-def: $vgpr14_vgpr15
	s_branch .LBB6_328
.LBB6_326:                              ;   in Loop: Header=BB6_294 Depth=1
	v_mov_b64_e32 v[14:15], 0
.LBB6_327:                              ;   in Loop: Header=BB6_294 Depth=1
	s_mov_b64 s[12:13], 0
	s_mov_b64 s[10:11], s[0:1]
.LBB6_328:                              ;   in Loop: Header=BB6_294 Depth=1
	s_andn2_b64 vcc, exec, s[12:13]
	s_mov_b32 s15, 0
	s_cbranch_vccnz .LBB6_330
; %bb.329:                              ;   in Loop: Header=BB6_294 Depth=1
	global_load_dwordx2 v[14:15], v29, s[0:1]
	s_add_i32 s15, s14, -8
.LBB6_330:                              ;   in Loop: Header=BB6_294 Depth=1
	s_add_u32 s0, s10, 8
	s_addc_u32 s1, s11, 0
	s_cmp_gt_u32 s15, 7
	s_cbranch_scc1 .LBB6_334
; %bb.331:                              ;   in Loop: Header=BB6_294 Depth=1
	s_cmp_eq_u32 s15, 0
	s_cbranch_scc1 .LBB6_335
; %bb.332:                              ;   in Loop: Header=BB6_294 Depth=1
	s_mov_b64 s[0:1], 0
	v_mov_b64_e32 v[16:17], 0
	s_mov_b64 s[12:13], 0
.LBB6_333:                              ;   Parent Loop BB6_294 Depth=1
                                        ; =>  This Inner Loop Header: Depth=2
	s_add_u32 s16, s10, s12
	s_addc_u32 s17, s11, s13
	global_load_ubyte v2, v29, s[16:17]
	s_add_u32 s12, s12, 1
	s_addc_u32 s13, s13, 0
	s_waitcnt vmcnt(0)
	v_and_b32_e32 v28, 0xffff, v2
	v_lshlrev_b64 v[2:3], s0, v[28:29]
	s_add_u32 s0, s0, 8
	s_addc_u32 s1, s1, 0
	v_or_b32_e32 v16, v2, v16
	s_cmp_lg_u32 s15, s12
	v_or_b32_e32 v17, v3, v17
	s_cbranch_scc1 .LBB6_333
	s_branch .LBB6_336
.LBB6_334:                              ;   in Loop: Header=BB6_294 Depth=1
	s_mov_b64 s[12:13], -1
	s_branch .LBB6_337
.LBB6_335:                              ;   in Loop: Header=BB6_294 Depth=1
	v_mov_b64_e32 v[16:17], 0
.LBB6_336:                              ;   in Loop: Header=BB6_294 Depth=1
	s_mov_b64 s[12:13], 0
	s_mov_b64 s[0:1], s[10:11]
.LBB6_337:                              ;   in Loop: Header=BB6_294 Depth=1
	s_andn2_b64 vcc, exec, s[12:13]
	s_mov_b32 s14, 0
	s_cbranch_vccnz .LBB6_339
; %bb.338:                              ;   in Loop: Header=BB6_294 Depth=1
	global_load_dwordx2 v[16:17], v29, s[10:11]
	s_add_i32 s14, s15, -8
.LBB6_339:                              ;   in Loop: Header=BB6_294 Depth=1
	s_add_u32 s10, s0, 8
	s_addc_u32 s11, s1, 0
	s_cmp_gt_u32 s14, 7
	s_cbranch_scc1 .LBB6_343
; %bb.340:                              ;   in Loop: Header=BB6_294 Depth=1
	s_cmp_eq_u32 s14, 0
	s_cbranch_scc1 .LBB6_344
; %bb.341:                              ;   in Loop: Header=BB6_294 Depth=1
	s_mov_b64 s[10:11], 0
	v_mov_b64_e32 v[18:19], 0
	s_mov_b64 s[12:13], 0
.LBB6_342:                              ;   Parent Loop BB6_294 Depth=1
                                        ; =>  This Inner Loop Header: Depth=2
	s_add_u32 s16, s0, s12
	s_addc_u32 s17, s1, s13
	global_load_ubyte v2, v29, s[16:17]
	s_add_u32 s12, s12, 1
	s_addc_u32 s13, s13, 0
	s_waitcnt vmcnt(0)
	v_and_b32_e32 v28, 0xffff, v2
	v_lshlrev_b64 v[2:3], s10, v[28:29]
	s_add_u32 s10, s10, 8
	s_addc_u32 s11, s11, 0
	v_or_b32_e32 v18, v2, v18
	s_cmp_lg_u32 s14, s12
	v_or_b32_e32 v19, v3, v19
	s_cbranch_scc1 .LBB6_342
	s_branch .LBB6_345
.LBB6_343:                              ;   in Loop: Header=BB6_294 Depth=1
	s_mov_b64 s[12:13], -1
                                        ; implicit-def: $vgpr18_vgpr19
	s_branch .LBB6_346
.LBB6_344:                              ;   in Loop: Header=BB6_294 Depth=1
	v_mov_b64_e32 v[18:19], 0
.LBB6_345:                              ;   in Loop: Header=BB6_294 Depth=1
	s_mov_b64 s[12:13], 0
	s_mov_b64 s[10:11], s[0:1]
.LBB6_346:                              ;   in Loop: Header=BB6_294 Depth=1
	s_andn2_b64 vcc, exec, s[12:13]
	s_mov_b32 s15, 0
	s_cbranch_vccnz .LBB6_348
; %bb.347:                              ;   in Loop: Header=BB6_294 Depth=1
	global_load_dwordx2 v[18:19], v29, s[0:1]
	s_add_i32 s15, s14, -8
.LBB6_348:                              ;   in Loop: Header=BB6_294 Depth=1
	s_cmp_gt_u32 s15, 7
	s_cbranch_scc1 .LBB6_352
; %bb.349:                              ;   in Loop: Header=BB6_294 Depth=1
	s_cmp_eq_u32 s15, 0
	s_cbranch_scc1 .LBB6_353
; %bb.350:                              ;   in Loop: Header=BB6_294 Depth=1
	s_mov_b64 s[0:1], 0
	v_mov_b64_e32 v[20:21], 0
	s_mov_b64 s[12:13], s[10:11]
.LBB6_351:                              ;   Parent Loop BB6_294 Depth=1
                                        ; =>  This Inner Loop Header: Depth=2
	global_load_ubyte v2, v29, s[12:13]
	s_add_i32 s15, s15, -1
	s_waitcnt vmcnt(0)
	v_and_b32_e32 v28, 0xffff, v2
	v_lshlrev_b64 v[2:3], s0, v[28:29]
	s_add_u32 s0, s0, 8
	s_addc_u32 s1, s1, 0
	s_add_u32 s12, s12, 1
	s_addc_u32 s13, s13, 0
	v_or_b32_e32 v20, v2, v20
	s_cmp_lg_u32 s15, 0
	v_or_b32_e32 v21, v3, v21
	s_cbranch_scc1 .LBB6_351
	s_branch .LBB6_354
.LBB6_352:                              ;   in Loop: Header=BB6_294 Depth=1
	s_mov_b64 s[0:1], -1
	s_branch .LBB6_355
.LBB6_353:                              ;   in Loop: Header=BB6_294 Depth=1
	v_mov_b64_e32 v[20:21], 0
.LBB6_354:                              ;   in Loop: Header=BB6_294 Depth=1
	s_mov_b64 s[0:1], 0
.LBB6_355:                              ;   in Loop: Header=BB6_294 Depth=1
	s_andn2_b64 vcc, exec, s[0:1]
	s_cbranch_vccnz .LBB6_357
; %bb.356:                              ;   in Loop: Header=BB6_294 Depth=1
	global_load_dwordx2 v[20:21], v29, s[10:11]
.LBB6_357:                              ;   in Loop: Header=BB6_294 Depth=1
	v_readfirstlane_b32 s0, v32
	v_mov_b64_e32 v[2:3], 0
	s_nop 0
	v_cmp_eq_u32_e64 s[0:1], s0, v32
	s_and_saveexec_b64 s[10:11], s[0:1]
	s_cbranch_execz .LBB6_363
; %bb.358:                              ;   in Loop: Header=BB6_294 Depth=1
	global_load_dwordx2 v[24:25], v29, s[2:3] offset:24 sc0 sc1
	s_waitcnt vmcnt(0)
	buffer_inv sc0 sc1
	global_load_dwordx2 v[2:3], v29, s[2:3] offset:40
	global_load_dwordx2 v[22:23], v29, s[2:3]
	s_waitcnt vmcnt(1)
	v_and_b32_e32 v2, v2, v24
	v_and_b32_e32 v3, v3, v25
	v_mul_lo_u32 v3, v3, 24
	v_mul_hi_u32 v27, v2, 24
	v_add_u32_e32 v3, v27, v3
	v_mul_lo_u32 v2, v2, 24
	s_waitcnt vmcnt(0)
	v_lshl_add_u64 v[2:3], v[22:23], 0, v[2:3]
	global_load_dwordx2 v[22:23], v[2:3], off sc0 sc1
	s_waitcnt vmcnt(0)
	global_atomic_cmpswap_x2 v[2:3], v29, v[22:25], s[2:3] offset:24 sc0 sc1
	s_waitcnt vmcnt(0)
	buffer_inv sc0 sc1
	v_cmp_ne_u64_e32 vcc, v[2:3], v[24:25]
	s_and_saveexec_b64 s[12:13], vcc
	s_cbranch_execz .LBB6_362
; %bb.359:                              ;   in Loop: Header=BB6_294 Depth=1
	s_mov_b64 s[14:15], 0
.LBB6_360:                              ;   Parent Loop BB6_294 Depth=1
                                        ; =>  This Inner Loop Header: Depth=2
	s_sleep 1
	global_load_dwordx2 v[22:23], v29, s[2:3] offset:40
	global_load_dwordx2 v[30:31], v29, s[2:3]
	v_mov_b64_e32 v[24:25], v[2:3]
	s_waitcnt vmcnt(1)
	v_and_b32_e32 v2, v22, v24
	s_waitcnt vmcnt(0)
	v_mad_u64_u32 v[2:3], s[16:17], v2, 24, v[30:31]
	v_and_b32_e32 v23, v23, v25
	v_mov_b32_e32 v22, v3
	v_mad_u64_u32 v[22:23], s[16:17], v23, 24, v[22:23]
	v_mov_b32_e32 v3, v22
	global_load_dwordx2 v[22:23], v[2:3], off sc0 sc1
	s_waitcnt vmcnt(0)
	global_atomic_cmpswap_x2 v[2:3], v29, v[22:25], s[2:3] offset:24 sc0 sc1
	s_waitcnt vmcnt(0)
	buffer_inv sc0 sc1
	v_cmp_eq_u64_e32 vcc, v[2:3], v[24:25]
	s_or_b64 s[14:15], vcc, s[14:15]
	s_andn2_b64 exec, exec, s[14:15]
	s_cbranch_execnz .LBB6_360
; %bb.361:                              ;   in Loop: Header=BB6_294 Depth=1
	s_or_b64 exec, exec, s[14:15]
.LBB6_362:                              ;   in Loop: Header=BB6_294 Depth=1
	s_or_b64 exec, exec, s[12:13]
.LBB6_363:                              ;   in Loop: Header=BB6_294 Depth=1
	s_or_b64 exec, exec, s[10:11]
	global_load_dwordx2 v[30:31], v29, s[2:3] offset:40
	global_load_dwordx4 v[22:25], v29, s[2:3]
	v_readfirstlane_b32 s11, v3
	v_readfirstlane_b32 s10, v2
	s_mov_b64 s[12:13], exec
	s_waitcnt vmcnt(1)
	v_readfirstlane_b32 s14, v30
	v_readfirstlane_b32 s15, v31
	s_and_b64 s[14:15], s[14:15], s[10:11]
	s_mul_i32 s16, s15, 24
	s_mul_hi_u32 s17, s14, 24
	s_add_i32 s17, s17, s16
	s_mul_i32 s16, s14, 24
	s_waitcnt vmcnt(0)
	v_lshl_add_u64 v[30:31], v[22:23], 0, s[16:17]
	s_and_saveexec_b64 s[16:17], s[0:1]
	s_cbranch_execz .LBB6_365
; %bb.364:                              ;   in Loop: Header=BB6_294 Depth=1
	v_mov_b64_e32 v[2:3], s[12:13]
	global_store_dwordx4 v[30:31], v[2:5], off offset:8
.LBB6_365:                              ;   in Loop: Header=BB6_294 Depth=1
	s_or_b64 exec, exec, s[16:17]
	s_lshl_b64 s[12:13], s[14:15], 12
	v_lshl_add_u64 v[2:3], v[24:25], 0, s[12:13]
	v_cmp_gt_u64_e64 s[12:13], s[6:7], 56
	s_and_b64 s[12:13], s[12:13], exec
	s_cselect_b32 s12, 0, 2
	s_lshl_b32 s13, s8, 2
	s_add_i32 s13, s13, 28
	v_and_b32_e32 v6, 0xffffff1f, v6
	s_and_b32 s13, s13, 0x1e0
	v_or_b32_e32 v6, s12, v6
	v_or_b32_e32 v6, s13, v6
	v_readfirstlane_b32 s12, v2
	v_readfirstlane_b32 s13, v3
	s_nop 4
	global_store_dwordx4 v26, v[6:9], s[12:13]
	global_store_dwordx4 v26, v[10:13], s[12:13] offset:16
	global_store_dwordx4 v26, v[14:17], s[12:13] offset:32
	;; [unrolled: 1-line block ×3, first 2 shown]
	s_and_saveexec_b64 s[12:13], s[0:1]
	s_cbranch_execz .LBB6_373
; %bb.366:                              ;   in Loop: Header=BB6_294 Depth=1
	global_load_dwordx2 v[14:15], v29, s[2:3] offset:32 sc0 sc1
	global_load_dwordx2 v[6:7], v29, s[2:3] offset:40
	v_mov_b32_e32 v12, s10
	v_mov_b32_e32 v13, s11
	s_waitcnt vmcnt(0)
	v_readfirstlane_b32 s14, v6
	v_readfirstlane_b32 s15, v7
	s_and_b64 s[14:15], s[14:15], s[10:11]
	s_mul_i32 s15, s15, 24
	s_mul_hi_u32 s16, s14, 24
	s_mul_i32 s14, s14, 24
	s_add_i32 s15, s16, s15
	v_lshl_add_u64 v[10:11], v[22:23], 0, s[14:15]
	global_store_dwordx2 v[10:11], v[14:15], off
	buffer_wbl2 sc0 sc1
	s_waitcnt vmcnt(0)
	global_atomic_cmpswap_x2 v[8:9], v29, v[12:15], s[2:3] offset:32 sc0 sc1
	s_waitcnt vmcnt(0)
	v_cmp_ne_u64_e32 vcc, v[8:9], v[14:15]
	s_and_saveexec_b64 s[14:15], vcc
	s_cbranch_execz .LBB6_369
; %bb.367:                              ;   in Loop: Header=BB6_294 Depth=1
	s_mov_b64 s[16:17], 0
.LBB6_368:                              ;   Parent Loop BB6_294 Depth=1
                                        ; =>  This Inner Loop Header: Depth=2
	s_sleep 1
	global_store_dwordx2 v[10:11], v[8:9], off
	v_mov_b32_e32 v6, s10
	v_mov_b32_e32 v7, s11
	buffer_wbl2 sc0 sc1
	s_waitcnt vmcnt(0)
	global_atomic_cmpswap_x2 v[6:7], v29, v[6:9], s[2:3] offset:32 sc0 sc1
	s_waitcnt vmcnt(0)
	v_cmp_eq_u64_e32 vcc, v[6:7], v[8:9]
	s_or_b64 s[16:17], vcc, s[16:17]
	v_mov_b64_e32 v[8:9], v[6:7]
	s_andn2_b64 exec, exec, s[16:17]
	s_cbranch_execnz .LBB6_368
.LBB6_369:                              ;   in Loop: Header=BB6_294 Depth=1
	s_or_b64 exec, exec, s[14:15]
	global_load_dwordx2 v[6:7], v29, s[2:3] offset:16
	s_mov_b64 s[16:17], exec
	v_mbcnt_lo_u32_b32 v8, s16, 0
	v_mbcnt_hi_u32_b32 v8, s17, v8
	v_cmp_eq_u32_e32 vcc, 0, v8
	s_and_saveexec_b64 s[14:15], vcc
	s_cbranch_execz .LBB6_371
; %bb.370:                              ;   in Loop: Header=BB6_294 Depth=1
	s_bcnt1_i32_b64 s16, s[16:17]
	v_mov_b32_e32 v28, s16
	buffer_wbl2 sc0 sc1
	s_waitcnt vmcnt(0)
	global_atomic_add_x2 v[6:7], v[28:29], off offset:8 sc1
.LBB6_371:                              ;   in Loop: Header=BB6_294 Depth=1
	s_or_b64 exec, exec, s[14:15]
	s_waitcnt vmcnt(0)
	global_load_dwordx2 v[8:9], v[6:7], off offset:16
	s_waitcnt vmcnt(0)
	v_cmp_eq_u64_e32 vcc, 0, v[8:9]
	s_cbranch_vccnz .LBB6_373
; %bb.372:                              ;   in Loop: Header=BB6_294 Depth=1
	global_load_dword v28, v[6:7], off offset:24
	s_waitcnt vmcnt(0)
	v_readfirstlane_b32 s14, v28
	s_and_b32 m0, s14, 0xffffff
	buffer_wbl2 sc0 sc1
	global_store_dwordx2 v[8:9], v[28:29], off sc0 sc1
	s_sendmsg sendmsg(MSG_INTERRUPT)
.LBB6_373:                              ;   in Loop: Header=BB6_294 Depth=1
	s_or_b64 exec, exec, s[12:13]
	v_mov_b32_e32 v27, v29
	v_lshl_add_u64 v[2:3], v[2:3], 0, v[26:27]
	s_branch .LBB6_377
.LBB6_374:                              ;   in Loop: Header=BB6_377 Depth=2
	s_or_b64 exec, exec, s[12:13]
	v_readfirstlane_b32 s12, v6
	s_cmp_eq_u32 s12, 0
	s_cbranch_scc1 .LBB6_376
; %bb.375:                              ;   in Loop: Header=BB6_377 Depth=2
	s_sleep 1
	s_cbranch_execnz .LBB6_377
	s_branch .LBB6_379
.LBB6_376:                              ;   in Loop: Header=BB6_294 Depth=1
	s_branch .LBB6_379
.LBB6_377:                              ;   Parent Loop BB6_294 Depth=1
                                        ; =>  This Inner Loop Header: Depth=2
	v_mov_b32_e32 v6, 1
	s_and_saveexec_b64 s[12:13], s[0:1]
	s_cbranch_execz .LBB6_374
; %bb.378:                              ;   in Loop: Header=BB6_377 Depth=2
	global_load_dword v6, v[30:31], off offset:20 sc0 sc1
	s_waitcnt vmcnt(0)
	buffer_inv sc0 sc1
	v_and_b32_e32 v6, 1, v6
	s_branch .LBB6_374
.LBB6_379:                              ;   in Loop: Header=BB6_294 Depth=1
	global_load_dwordx4 v[6:9], v[2:3], off
	s_and_saveexec_b64 s[12:13], s[0:1]
	s_cbranch_execz .LBB6_293
; %bb.380:                              ;   in Loop: Header=BB6_294 Depth=1
	global_load_dwordx2 v[2:3], v29, s[2:3] offset:40
	global_load_dwordx2 v[12:13], v29, s[2:3] offset:24 sc0 sc1
	global_load_dwordx2 v[8:9], v29, s[2:3]
	s_waitcnt vmcnt(2)
	v_readfirstlane_b32 s14, v2
	v_readfirstlane_b32 s15, v3
	s_add_u32 s16, s14, 1
	s_addc_u32 s17, s15, 0
	s_add_u32 s0, s16, s10
	s_addc_u32 s1, s17, s11
	s_cmp_eq_u64 s[0:1], 0
	s_cselect_b32 s1, s17, s1
	s_cselect_b32 s0, s16, s0
	s_and_b64 s[10:11], s[0:1], s[14:15]
	s_mul_i32 s11, s11, 24
	s_mul_hi_u32 s14, s10, 24
	s_mul_i32 s10, s10, 24
	s_add_i32 s11, s14, s11
	s_waitcnt vmcnt(0)
	v_lshl_add_u64 v[2:3], v[8:9], 0, s[10:11]
	v_mov_b32_e32 v10, s0
	global_store_dwordx2 v[2:3], v[12:13], off
	v_mov_b32_e32 v11, s1
	buffer_wbl2 sc0 sc1
	s_waitcnt vmcnt(0)
	global_atomic_cmpswap_x2 v[10:11], v29, v[10:13], s[2:3] offset:24 sc0 sc1
	s_waitcnt vmcnt(0)
	v_cmp_ne_u64_e32 vcc, v[10:11], v[12:13]
	s_and_b64 exec, exec, vcc
	s_cbranch_execz .LBB6_293
; %bb.381:                              ;   in Loop: Header=BB6_294 Depth=1
	s_mov_b64 s[10:11], 0
.LBB6_382:                              ;   Parent Loop BB6_294 Depth=1
                                        ; =>  This Inner Loop Header: Depth=2
	s_sleep 1
	global_store_dwordx2 v[2:3], v[10:11], off
	v_mov_b32_e32 v8, s0
	v_mov_b32_e32 v9, s1
	buffer_wbl2 sc0 sc1
	s_waitcnt vmcnt(0)
	global_atomic_cmpswap_x2 v[8:9], v29, v[8:11], s[2:3] offset:24 sc0 sc1
	s_waitcnt vmcnt(0)
	v_cmp_eq_u64_e32 vcc, v[8:9], v[10:11]
	s_or_b64 s[10:11], vcc, s[10:11]
	v_mov_b64_e32 v[10:11], v[8:9]
	s_andn2_b64 exec, exec, s[10:11]
	s_cbranch_execnz .LBB6_382
	s_branch .LBB6_293
.LBB6_383:
	s_mov_b64 s[0:1], 0
	s_branch .LBB6_385
.LBB6_384:
	s_mov_b64 s[0:1], -1
.LBB6_385:
	s_and_b64 vcc, exec, s[0:1]
	s_cbranch_vccz .LBB6_412
; %bb.386:
	v_readfirstlane_b32 s0, v32
	s_waitcnt vmcnt(0)
	v_mov_b64_e32 v[8:9], 0
	v_cmp_eq_u32_e64 s[0:1], s0, v32
	s_and_saveexec_b64 s[4:5], s[0:1]
	s_cbranch_execz .LBB6_392
; %bb.387:
	v_mov_b32_e32 v2, 0
	global_load_dwordx2 v[6:7], v2, s[2:3] offset:24 sc0 sc1
	s_waitcnt vmcnt(0)
	buffer_inv sc0 sc1
	global_load_dwordx2 v[4:5], v2, s[2:3] offset:40
	global_load_dwordx2 v[8:9], v2, s[2:3]
	s_waitcnt vmcnt(1)
	v_and_b32_e32 v3, v4, v6
	v_and_b32_e32 v4, v5, v7
	v_mul_lo_u32 v4, v4, 24
	v_mul_hi_u32 v5, v3, 24
	v_add_u32_e32 v5, v5, v4
	v_mul_lo_u32 v4, v3, 24
	s_waitcnt vmcnt(0)
	v_lshl_add_u64 v[4:5], v[8:9], 0, v[4:5]
	global_load_dwordx2 v[4:5], v[4:5], off sc0 sc1
	s_waitcnt vmcnt(0)
	global_atomic_cmpswap_x2 v[8:9], v2, v[4:7], s[2:3] offset:24 sc0 sc1
	s_waitcnt vmcnt(0)
	buffer_inv sc0 sc1
	v_cmp_ne_u64_e32 vcc, v[8:9], v[6:7]
	s_and_saveexec_b64 s[6:7], vcc
	s_cbranch_execz .LBB6_391
; %bb.388:
	s_mov_b64 s[8:9], 0
.LBB6_389:                              ; =>This Inner Loop Header: Depth=1
	s_sleep 1
	global_load_dwordx2 v[4:5], v2, s[2:3] offset:40
	global_load_dwordx2 v[10:11], v2, s[2:3]
	v_mov_b64_e32 v[6:7], v[8:9]
	s_waitcnt vmcnt(1)
	v_and_b32_e32 v4, v4, v6
	v_and_b32_e32 v3, v5, v7
	s_waitcnt vmcnt(0)
	v_mad_u64_u32 v[4:5], s[10:11], v4, 24, v[10:11]
	v_mov_b32_e32 v8, v5
	v_mad_u64_u32 v[8:9], s[10:11], v3, 24, v[8:9]
	v_mov_b32_e32 v5, v8
	global_load_dwordx2 v[4:5], v[4:5], off sc0 sc1
	s_waitcnt vmcnt(0)
	global_atomic_cmpswap_x2 v[8:9], v2, v[4:7], s[2:3] offset:24 sc0 sc1
	s_waitcnt vmcnt(0)
	buffer_inv sc0 sc1
	v_cmp_eq_u64_e32 vcc, v[8:9], v[6:7]
	s_or_b64 s[8:9], vcc, s[8:9]
	s_andn2_b64 exec, exec, s[8:9]
	s_cbranch_execnz .LBB6_389
; %bb.390:
	s_or_b64 exec, exec, s[8:9]
.LBB6_391:
	s_or_b64 exec, exec, s[6:7]
.LBB6_392:
	s_or_b64 exec, exec, s[4:5]
	v_mov_b32_e32 v2, 0
	global_load_dwordx2 v[10:11], v2, s[2:3] offset:40
	global_load_dwordx4 v[4:7], v2, s[2:3]
	v_readfirstlane_b32 s5, v9
	v_readfirstlane_b32 s4, v8
	s_mov_b64 s[6:7], exec
	s_waitcnt vmcnt(1)
	v_readfirstlane_b32 s8, v10
	v_readfirstlane_b32 s9, v11
	s_and_b64 s[8:9], s[8:9], s[4:5]
	s_mul_i32 s10, s9, 24
	s_mul_hi_u32 s11, s8, 24
	s_add_i32 s11, s11, s10
	s_mul_i32 s10, s8, 24
	s_waitcnt vmcnt(0)
	v_lshl_add_u64 v[8:9], v[4:5], 0, s[10:11]
	s_and_saveexec_b64 s[10:11], s[0:1]
	s_cbranch_execz .LBB6_394
; %bb.393:
	v_mov_b64_e32 v[10:11], s[6:7]
	v_mov_b32_e32 v12, 2
	v_mov_b32_e32 v13, 1
	global_store_dwordx4 v[8:9], v[10:13], off offset:8
.LBB6_394:
	s_or_b64 exec, exec, s[10:11]
	s_lshl_b64 s[6:7], s[8:9], 12
	v_lshl_add_u64 v[6:7], v[6:7], 0, s[6:7]
	s_movk_i32 s6, 0xff1d
	s_mov_b32 s8, 0
	v_and_or_b32 v0, v0, s6, 34
	v_mov_b32_e32 v3, v2
	v_readfirstlane_b32 s6, v6
	v_readfirstlane_b32 s7, v7
	s_mov_b32 s9, s8
	s_mov_b32 s10, s8
	;; [unrolled: 1-line block ×3, first 2 shown]
	s_nop 1
	global_store_dwordx4 v26, v[0:3], s[6:7]
	s_nop 1
	v_mov_b64_e32 v[0:1], s[8:9]
	v_mov_b64_e32 v[2:3], s[10:11]
	global_store_dwordx4 v26, v[0:3], s[6:7] offset:16
	global_store_dwordx4 v26, v[0:3], s[6:7] offset:32
	;; [unrolled: 1-line block ×3, first 2 shown]
	s_and_saveexec_b64 s[6:7], s[0:1]
	s_cbranch_execz .LBB6_402
; %bb.395:
	v_mov_b32_e32 v6, 0
	global_load_dwordx2 v[12:13], v6, s[2:3] offset:32 sc0 sc1
	global_load_dwordx2 v[0:1], v6, s[2:3] offset:40
	v_mov_b32_e32 v10, s4
	v_mov_b32_e32 v11, s5
	s_waitcnt vmcnt(0)
	v_readfirstlane_b32 s8, v0
	v_readfirstlane_b32 s9, v1
	s_and_b64 s[8:9], s[8:9], s[4:5]
	s_mul_i32 s9, s9, 24
	s_mul_hi_u32 s10, s8, 24
	s_mul_i32 s8, s8, 24
	s_add_i32 s9, s10, s9
	v_lshl_add_u64 v[4:5], v[4:5], 0, s[8:9]
	global_store_dwordx2 v[4:5], v[12:13], off
	buffer_wbl2 sc0 sc1
	s_waitcnt vmcnt(0)
	global_atomic_cmpswap_x2 v[2:3], v6, v[10:13], s[2:3] offset:32 sc0 sc1
	s_waitcnt vmcnt(0)
	v_cmp_ne_u64_e32 vcc, v[2:3], v[12:13]
	s_and_saveexec_b64 s[8:9], vcc
	s_cbranch_execz .LBB6_398
; %bb.396:
	s_mov_b64 s[10:11], 0
.LBB6_397:                              ; =>This Inner Loop Header: Depth=1
	s_sleep 1
	global_store_dwordx2 v[4:5], v[2:3], off
	v_mov_b32_e32 v0, s4
	v_mov_b32_e32 v1, s5
	buffer_wbl2 sc0 sc1
	s_waitcnt vmcnt(0)
	global_atomic_cmpswap_x2 v[0:1], v6, v[0:3], s[2:3] offset:32 sc0 sc1
	s_waitcnt vmcnt(0)
	v_cmp_eq_u64_e32 vcc, v[0:1], v[2:3]
	s_or_b64 s[10:11], vcc, s[10:11]
	v_mov_b64_e32 v[2:3], v[0:1]
	s_andn2_b64 exec, exec, s[10:11]
	s_cbranch_execnz .LBB6_397
.LBB6_398:
	s_or_b64 exec, exec, s[8:9]
	v_mov_b32_e32 v3, 0
	global_load_dwordx2 v[0:1], v3, s[2:3] offset:16
	s_mov_b64 s[8:9], exec
	v_mbcnt_lo_u32_b32 v2, s8, 0
	v_mbcnt_hi_u32_b32 v2, s9, v2
	v_cmp_eq_u32_e32 vcc, 0, v2
	s_and_saveexec_b64 s[10:11], vcc
	s_cbranch_execz .LBB6_400
; %bb.399:
	s_bcnt1_i32_b64 s8, s[8:9]
	v_mov_b32_e32 v2, s8
	buffer_wbl2 sc0 sc1
	s_waitcnt vmcnt(0)
	global_atomic_add_x2 v[0:1], v[2:3], off offset:8 sc1
.LBB6_400:
	s_or_b64 exec, exec, s[10:11]
	s_waitcnt vmcnt(0)
	global_load_dwordx2 v[2:3], v[0:1], off offset:16
	s_waitcnt vmcnt(0)
	v_cmp_eq_u64_e32 vcc, 0, v[2:3]
	s_cbranch_vccnz .LBB6_402
; %bb.401:
	global_load_dword v0, v[0:1], off offset:24
	v_mov_b32_e32 v1, 0
	s_waitcnt vmcnt(0)
	v_readfirstlane_b32 s8, v0
	s_and_b32 m0, s8, 0xffffff
	buffer_wbl2 sc0 sc1
	global_store_dwordx2 v[2:3], v[0:1], off sc0 sc1
	s_sendmsg sendmsg(MSG_INTERRUPT)
.LBB6_402:
	s_or_b64 exec, exec, s[6:7]
	s_branch .LBB6_406
.LBB6_403:                              ;   in Loop: Header=BB6_406 Depth=1
	s_or_b64 exec, exec, s[6:7]
	v_readfirstlane_b32 s6, v0
	s_cmp_eq_u32 s6, 0
	s_cbranch_scc1 .LBB6_405
; %bb.404:                              ;   in Loop: Header=BB6_406 Depth=1
	s_sleep 1
	s_cbranch_execnz .LBB6_406
	s_branch .LBB6_408
.LBB6_405:
	s_branch .LBB6_408
.LBB6_406:                              ; =>This Inner Loop Header: Depth=1
	v_mov_b32_e32 v0, 1
	s_and_saveexec_b64 s[6:7], s[0:1]
	s_cbranch_execz .LBB6_403
; %bb.407:                              ;   in Loop: Header=BB6_406 Depth=1
	global_load_dword v0, v[8:9], off offset:20 sc0 sc1
	s_waitcnt vmcnt(0)
	buffer_inv sc0 sc1
	v_and_b32_e32 v0, 1, v0
	s_branch .LBB6_403
.LBB6_408:
	s_and_saveexec_b64 s[6:7], s[0:1]
	s_cbranch_execz .LBB6_411
; %bb.409:
	v_mov_b32_e32 v6, 0
	global_load_dwordx2 v[0:1], v6, s[2:3] offset:40
	global_load_dwordx2 v[10:11], v6, s[2:3] offset:24 sc0 sc1
	global_load_dwordx2 v[2:3], v6, s[2:3]
	s_waitcnt vmcnt(2)
	v_readfirstlane_b32 s8, v0
	v_readfirstlane_b32 s9, v1
	s_add_u32 s10, s8, 1
	s_addc_u32 s11, s9, 0
	s_add_u32 s0, s10, s4
	s_addc_u32 s1, s11, s5
	s_cmp_eq_u64 s[0:1], 0
	s_cselect_b32 s1, s11, s1
	s_cselect_b32 s0, s10, s0
	s_and_b64 s[4:5], s[0:1], s[8:9]
	s_mul_i32 s5, s5, 24
	s_mul_hi_u32 s8, s4, 24
	s_mul_i32 s4, s4, 24
	s_add_i32 s5, s8, s5
	s_waitcnt vmcnt(0)
	v_lshl_add_u64 v[4:5], v[2:3], 0, s[4:5]
	v_mov_b32_e32 v8, s0
	global_store_dwordx2 v[4:5], v[10:11], off
	v_mov_b32_e32 v9, s1
	buffer_wbl2 sc0 sc1
	s_waitcnt vmcnt(0)
	global_atomic_cmpswap_x2 v[2:3], v6, v[8:11], s[2:3] offset:24 sc0 sc1
	s_mov_b64 s[4:5], 0
	s_waitcnt vmcnt(0)
	v_cmp_ne_u64_e32 vcc, v[2:3], v[10:11]
	s_and_b64 exec, exec, vcc
	s_cbranch_execz .LBB6_411
.LBB6_410:                              ; =>This Inner Loop Header: Depth=1
	s_sleep 1
	global_store_dwordx2 v[4:5], v[2:3], off
	v_mov_b32_e32 v0, s0
	v_mov_b32_e32 v1, s1
	buffer_wbl2 sc0 sc1
	s_waitcnt vmcnt(0)
	global_atomic_cmpswap_x2 v[0:1], v6, v[0:3], s[2:3] offset:24 sc0 sc1
	s_waitcnt vmcnt(0)
	v_cmp_eq_u64_e32 vcc, v[0:1], v[2:3]
	s_or_b64 s[4:5], vcc, s[4:5]
	v_mov_b64_e32 v[2:3], v[0:1]
	s_andn2_b64 exec, exec, s[4:5]
	s_cbranch_execnz .LBB6_410
.LBB6_411:
	s_or_b64 exec, exec, s[6:7]
.LBB6_412:
	s_getpc_b64 s[0:1]
	s_add_u32 s0, s0, .str.29@rel32@lo+4
	s_addc_u32 s1, s1, .str.29@rel32@hi+12
	s_getpc_b64 s[2:3]
	s_add_u32 s2, s2, .str.19@rel32@lo+4
	s_addc_u32 s3, s3, .str.19@rel32@hi+12
	s_getpc_b64 s[4:5]
	s_add_u32 s4, s4, __PRETTY_FUNCTION__._ZN7VecsMemIjLi8192EE5fetchEi@rel32@lo+4
	s_addc_u32 s5, s5, __PRETTY_FUNCTION__._ZN7VecsMemIjLi8192EE5fetchEi@rel32@hi+12
	s_getpc_b64 s[6:7]
	s_add_u32 s6, s6, __assert_fail@rel32@lo+4
	s_addc_u32 s7, s7, __assert_fail@rel32@hi+12
	s_mov_b64 s[8:9], s[64:65]
	s_waitcnt vmcnt(0)
	v_mov_b32_e32 v0, s0
	v_mov_b32_e32 v1, s1
	;; [unrolled: 1-line block ×7, first 2 shown]
	s_swappc_b64 s[30:31], s[6:7]
	s_or_b64 s[0:1], s[24:25], exec
.LBB6_413:
	s_or_b64 exec, exec, s[58:59]
	s_andn2_b64 s[2:3], s[24:25], exec
	s_and_b64 s[0:1], s[0:1], exec
	s_or_b64 s[58:59], s[2:3], s[0:1]
	s_orn2_b64 s[0:1], s[56:57], exec
.LBB6_414:
	s_or_b64 exec, exec, s[46:47]
	s_mov_b64 s[2:3], 0
	s_and_saveexec_b64 s[46:47], s[0:1]
	s_cbranch_execz .LBB6_426
; %bb.415:
	v_mov_b32_e32 v0, 0
	v_cmp_lt_i32_e32 vcc, 0, v56
	scratch_store_dwordx2 off, v[80:81], s33 offset:144
	s_and_saveexec_b64 s[0:1], vcc
	s_cbranch_execz .LBB6_423
; %bb.416:
	v_mov_b32_e32 v4, 0
	s_mov_b32 s6, 0
	v_mov_b64_e32 v[2:3], v[64:65]
	v_mov_b32_e32 v0, 0
	s_branch .LBB6_418
.LBB6_417:                              ;   in Loop: Header=BB6_418 Depth=1
	s_or_b64 exec, exec, s[4:5]
	flat_load_dword v56, v[54:55] offset:4
	s_add_i32 s6, s6, 1
	v_lshl_add_u64 v[2:3], v[2:3], 0, 4
	s_waitcnt vmcnt(0) lgkmcnt(0)
	v_cmp_ge_i32_e32 vcc, s6, v56
	s_or_b64 s[2:3], vcc, s[2:3]
	s_andn2_b64 exec, exec, s[2:3]
	s_cbranch_execz .LBB6_422
.LBB6_418:                              ; =>This Inner Loop Header: Depth=1
	flat_load_dword v5, v[2:3]
	s_waitcnt vmcnt(0) lgkmcnt(0)
	v_cmp_gt_i32_e32 vcc, 0, v5
	s_and_saveexec_b64 s[4:5], vcc
	s_xor_b64 s[4:5], exec, s[4:5]
	s_cbranch_execz .LBB6_420
; %bb.419:                              ;   in Loop: Header=BB6_418 Depth=1
	v_and_b32_e32 v1, 0x7fffffff, v5
	flat_store_dword v[2:3], v1
                                        ; implicit-def: $vgpr5
.LBB6_420:                              ;   in Loop: Header=BB6_418 Depth=1
	s_andn2_saveexec_b64 s[4:5], s[4:5]
	s_cbranch_execz .LBB6_417
; %bb.421:                              ;   in Loop: Header=BB6_418 Depth=1
	v_ashrrev_i32_e32 v1, 31, v0
	v_add_u32_e32 v4, 1, v0
	v_lshl_add_u64 v[0:1], v[0:1], 2, v[80:81]
	flat_store_dword v[0:1], v5
	v_mov_b32_e32 v0, v4
	s_branch .LBB6_417
.LBB6_422:
	s_or_b64 exec, exec, s[2:3]
	scratch_store_dword off, v4, s33 offset:140
.LBB6_423:
	s_or_b64 exec, exec, s[0:1]
	v_cmp_ne_u32_e32 vcc, v70, v0
	s_mov_b64 s[0:1], -1
	s_mov_b64 s[2:3], s[58:59]
	s_and_saveexec_b64 s[4:5], vcc
	s_xor_b64 s[56:57], exec, s[4:5]
	s_cbranch_execz .LBB6_425
; %bb.424:
	s_getpc_b64 s[0:1]
	s_add_u32 s0, s0, .str.40@rel32@lo+4
	s_addc_u32 s1, s1, .str.40@rel32@hi+12
	s_getpc_b64 s[2:3]
	s_add_u32 s2, s2, .str.31@rel32@lo+4
	s_addc_u32 s3, s3, .str.31@rel32@hi+12
	s_getpc_b64 s[4:5]
	s_add_u32 s4, s4, __PRETTY_FUNCTION__._ZN3sop17sopDivideInternalEPNS_3SopES1_S1_S1_P7VecsMemIjLi8192EE@rel32@lo+4
	s_addc_u32 s5, s5, __PRETTY_FUNCTION__._ZN3sop17sopDivideInternalEPNS_3SopES1_S1_S1_P7VecsMemIjLi8192EE@rel32@hi+12
	s_getpc_b64 s[6:7]
	s_add_u32 s6, s6, __assert_fail@rel32@lo+4
	s_addc_u32 s7, s7, __assert_fail@rel32@hi+12
	s_mov_b64 s[8:9], s[64:65]
	v_mov_b32_e32 v0, s0
	v_mov_b32_e32 v1, s1
	;; [unrolled: 1-line block ×7, first 2 shown]
	s_swappc_b64 s[30:31], s[6:7]
	s_or_b64 s[2:3], s[58:59], exec
	s_xor_b64 s[0:1], exec, -1
.LBB6_425:
	s_or_b64 exec, exec, s[56:57]
	s_andn2_b64 s[4:5], s[58:59], exec
	s_and_b64 s[2:3], s[2:3], exec
	s_or_b64 s[58:59], s[4:5], s[2:3]
	s_and_b64 s[2:3], s[0:1], exec
.LBB6_426:
	s_or_b64 exec, exec, s[46:47]
	s_andn2_b64 s[0:1], s[24:25], exec
	s_and_b64 s[4:5], s[58:59], exec
	s_or_b64 s[56:57], s[0:1], s[4:5]
	s_and_b64 s[46:47], s[2:3], exec
.LBB6_427:
	s_andn2_saveexec_b64 s[44:45], s[44:45]
	s_cbranch_execz .LBB6_429
; %bb.428:
	s_getpc_b64 s[0:1]
	s_add_u32 s0, s0, .str.39@rel32@lo+4
	s_addc_u32 s1, s1, .str.39@rel32@hi+12
	s_getpc_b64 s[2:3]
	s_add_u32 s2, s2, .str.31@rel32@lo+4
	s_addc_u32 s3, s3, .str.31@rel32@hi+12
	s_getpc_b64 s[4:5]
	s_add_u32 s4, s4, __PRETTY_FUNCTION__._ZN3sop17sopDivideInternalEPNS_3SopES1_S1_S1_P7VecsMemIjLi8192EE@rel32@lo+4
	s_addc_u32 s5, s5, __PRETTY_FUNCTION__._ZN3sop17sopDivideInternalEPNS_3SopES1_S1_S1_P7VecsMemIjLi8192EE@rel32@hi+12
	s_getpc_b64 s[6:7]
	s_add_u32 s6, s6, __assert_fail@rel32@lo+4
	s_addc_u32 s7, s7, __assert_fail@rel32@hi+12
	s_mov_b64 s[8:9], s[64:65]
	v_mov_b32_e32 v0, s0
	v_mov_b32_e32 v1, s1
	;; [unrolled: 1-line block ×7, first 2 shown]
	scratch_store_dword off, v82, s33 offset:124
	s_swappc_b64 s[30:31], s[6:7]
	s_or_b64 s[56:57], s[56:57], exec
.LBB6_429:
	s_or_b64 exec, exec, s[44:45]
	s_andn2_b64 s[0:1], s[24:25], exec
	s_and_b64 s[2:3], s[56:57], exec
	s_or_b64 s[24:25], s[0:1], s[2:3]
	s_and_b64 s[2:3], s[46:47], exec
.LBB6_430:
	s_or_b64 exec, exec, s[26:27]
	s_andn2_b64 s[0:1], s[70:71], exec
	s_and_b64 s[4:5], s[24:25], exec
	s_or_b64 s[24:25], s[0:1], s[4:5]
	s_and_b64 s[0:1], s[2:3], exec
                                        ; implicit-def: $vgpr70_vgpr71
	s_or_saveexec_b64 s[2:3], s[22:23]
	s_mov_b64 s[56:57], 0
	s_xor_b64 exec, exec, s[2:3]
	s_cbranch_execz .LBB6_72
.LBB6_431:
	flat_load_dword v0, v[58:59]
	s_movk_i32 s12, 0x2001
	v_mov_b32_e32 v57, 0
	s_mov_b64 s[6:7], 0
	s_mov_b64 s[8:9], -1
	s_mov_b64 s[10:11], s[0:1]
	scratch_store_dword off, v57, s33 offset:124
                                        ; implicit-def: $vgpr68
                                        ; implicit-def: $vgpr66_vgpr67
                                        ; implicit-def: $vgpr64_vgpr65
	s_waitcnt vmcnt(0) lgkmcnt(0)
	v_add_u32_e32 v0, v0, v56
	v_cmp_gt_i32_e32 vcc, s12, v0
	s_and_saveexec_b64 s[4:5], vcc
	s_cbranch_execz .LBB6_441
; %bb.432:
	flat_load_dword v12, v[70:71]
	v_ashrrev_i32_e32 v1, 31, v0
	v_lshl_add_u64 v[4:5], v[0:1], 2, v[58:59]
	v_lshlrev_b64 v[2:3], 2, v[56:57]
	v_sub_co_u32_e32 v2, vcc, v4, v2
	s_mov_b64 s[10:11], s[0:1]
	s_nop 0
	v_subb_co_u32_e32 v3, vcc, v5, v3, vcc
	v_lshl_add_u64 v[66:67], v[2:3], 0, 4
	v_add_u32_e32 v2, v0, v56
	v_cmp_gt_i32_e32 vcc, s12, v2
	s_mov_b64 s[12:13], -1
	flat_store_dword v[58:59], v0
	scratch_store_dwordx2 off, v[66:67], s33 offset:128
	scratch_store_dword off, v57, s33 offset:140
                                        ; implicit-def: $vgpr68
                                        ; implicit-def: $vgpr64_vgpr65
	s_and_saveexec_b64 s[6:7], vcc
	s_cbranch_execz .LBB6_440
; %bb.433:
	flat_load_dwordx2 v[64:65], v[54:55] offset:8
	v_sub_co_u32_e32 v6, vcc, 0, v56
	v_ashrrev_i32_e32 v57, 31, v56
	s_nop 0
	v_subb_co_u32_e64 v7, s[10:11], 0, 0, vcc
	v_lshl_add_u64 v[4:5], v[56:57], 2, v[4:5]
	v_lshlrev_b64 v[6:7], 2, v[6:7]
	v_lshl_add_u64 v[8:9], v[4:5], 0, v[6:7]
	v_lshl_add_u64 v[4:5], v[58:59], 0, v[6:7]
	;; [unrolled: 1-line block ×3, first 2 shown]
	s_mov_b64 s[8:9], 0
	v_ashrrev_i32_e32 v3, 31, v2
	s_waitcnt vmcnt(0) lgkmcnt(0)
	v_not_b32_e32 v13, v12
	v_mov_b32_e32 v14, 0
	s_mov_b32 s12, 0
	v_mov_b32_e32 v15, 0
	v_mov_b32_e32 v16, 0
	scratch_store_dwordx2 off, v[6:7], s33 offset:144
	v_mov_b32_e32 v8, 0
	flat_store_dword v[58:59], v2
	v_mov_b64_e32 v[6:7], v[64:65]
	s_branch .LBB6_435
.LBB6_434:                              ;   in Loop: Header=BB6_435 Depth=1
	s_or_b64 exec, exec, s[10:11]
	v_lshl_add_u64 v[10:11], v[10:11], 2, v[4:5]
	v_ashrrev_i32_e32 v9, 31, v8
	v_lshl_add_u64 v[8:9], v[8:9], 2, v[10:11]
	flat_store_dword v[8:9], v17 offset:4
	flat_load_dword v56, v[54:55] offset:4
	s_add_i32 s12, s12, 1
	v_lshl_add_u64 v[6:7], v[6:7], 0, 4
	v_mov_b32_e32 v8, v18
	s_waitcnt vmcnt(0) lgkmcnt(0)
	v_cmp_ge_i32_e32 vcc, s12, v56
	s_or_b64 s[8:9], vcc, s[8:9]
	s_andn2_b64 exec, exec, s[8:9]
	s_cbranch_execz .LBB6_439
.LBB6_435:                              ; =>This Inner Loop Header: Depth=1
	flat_load_dword v17, v[6:7]
	s_waitcnt vmcnt(0) lgkmcnt(0)
	v_and_b32_e32 v9, v17, v12
	v_cmp_ne_u32_e32 vcc, v9, v12
	s_and_saveexec_b64 s[10:11], vcc
	s_xor_b64 s[10:11], exec, s[10:11]
; %bb.436:                              ;   in Loop: Header=BB6_435 Depth=1
	v_add_u32_e32 v15, 1, v8
; %bb.437:                              ;   in Loop: Header=BB6_435 Depth=1
	s_or_saveexec_b64 s[10:11], s[10:11]
	v_mov_b32_e32 v68, v16
	v_mov_b32_e32 v18, v15
	v_mov_b64_e32 v[10:11], v[2:3]
	s_xor_b64 exec, exec, s[10:11]
	s_cbranch_execz .LBB6_434
; %bb.438:                              ;   in Loop: Header=BB6_435 Depth=1
	v_add_u32_e32 v14, 1, v16
	v_and_b32_e32 v17, v17, v13
	v_mov_b32_e32 v68, v14
	v_mov_b32_e32 v18, v8
	;; [unrolled: 1-line block ×3, first 2 shown]
	v_mov_b64_e32 v[10:11], v[0:1]
	v_mov_b32_e32 v16, v14
	s_branch .LBB6_434
.LBB6_439:
	s_or_b64 exec, exec, s[8:9]
	s_xor_b64 s[12:13], exec, -1
	s_or_b64 s[10:11], s[0:1], exec
	scratch_store_dword off, v15, s33 offset:140
	scratch_store_dword off, v14, s33 offset:124
.LBB6_440:
	s_or_b64 exec, exec, s[6:7]
	s_and_b64 s[6:7], s[12:13], exec
	s_andn2_b64 s[12:13], s[0:1], exec
	s_and_b64 s[10:11], s[10:11], exec
	s_xor_b64 s[8:9], exec, -1
	s_or_b64 s[10:11], s[12:13], s[10:11]
.LBB6_441:
	s_or_b64 exec, exec, s[4:5]
	s_andn2_b64 s[0:1], s[0:1], exec
	s_and_b64 s[4:5], s[10:11], exec
	s_and_b64 s[56:57], s[8:9], exec
	s_and_b64 s[42:43], s[6:7], exec
	s_or_b64 s[0:1], s[0:1], s[4:5]
	s_or_b64 exec, exec, s[2:3]
                                        ; implicit-def: $vgpr41
	s_and_saveexec_b64 s[58:59], s[0:1]
	s_cbranch_execz .LBB6_2614
.LBB6_442:
	v_cmp_gt_i32_e32 vcc, 1, v68
	s_mov_b64 s[26:27], s[24:25]
	s_and_saveexec_b64 s[0:1], vcc
	s_xor_b64 s[22:23], exec, s[0:1]
	s_cbranch_execz .LBB6_444
; %bb.443:
	s_getpc_b64 s[0:1]
	s_add_u32 s0, s0, .str.34@rel32@lo+4
	s_addc_u32 s1, s1, .str.34@rel32@hi+12
	s_getpc_b64 s[2:3]
	s_add_u32 s2, s2, .str.31@rel32@lo+4
	s_addc_u32 s3, s3, .str.31@rel32@hi+12
	s_getpc_b64 s[4:5]
	s_add_u32 s4, s4, __PRETTY_FUNCTION__._ZN3sop12sopFactorRecEPNS_3SopEiP7VecsMemIjLi8192EEPN8subgUtil4SubgILi256EEE@rel32@lo+4
	s_addc_u32 s5, s5, __PRETTY_FUNCTION__._ZN3sop12sopFactorRecEPNS_3SopEiP7VecsMemIjLi8192EEPN8subgUtil4SubgILi256EEE@rel32@hi+12
	s_getpc_b64 s[6:7]
	s_add_u32 s6, s6, __assert_fail@rel32@lo+4
	s_addc_u32 s7, s7, __assert_fail@rel32@hi+12
	s_mov_b64 s[8:9], s[64:65]
	v_mov_b32_e32 v0, s0
	v_mov_b32_e32 v1, s1
	;; [unrolled: 1-line block ×7, first 2 shown]
	s_swappc_b64 s[30:31], s[6:7]
	s_or_b64 s[26:27], s[24:25], exec
                                        ; implicit-def: $vgpr68
                                        ; implicit-def: $vgpr58_vgpr59
                                        ; implicit-def: $vgpr54_vgpr55
                                        ; implicit-def: $vgpr56
                                        ; implicit-def: $vgpr44
                                        ; implicit-def: $vgpr42_vgpr43
                                        ; implicit-def: $vgpr66_vgpr67
                                        ; implicit-def: $vgpr64_vgpr65
.LBB6_444:
	s_or_saveexec_b64 s[60:61], s[22:23]
                                        ; implicit-def: $vgpr41
	s_xor_b64 exec, exec, s[60:61]
	s_cbranch_execz .LBB6_2613
; %bb.445:
	v_cmp_ne_u32_e32 vcc, 1, v68
	s_mov_b64 s[72:73], 0
	s_mov_b64 s[46:47], 0
	;; [unrolled: 1-line block ×3, first 2 shown]
                                        ; implicit-def: $vgpr41
	s_and_saveexec_b64 s[0:1], vcc
	s_xor_b64 s[74:75], exec, s[0:1]
                                        ; implicit-def: $vgpr47 : SGPR spill to VGPR lane
	s_cbranch_execz .LBB6_1918
; %bb.446:
	v_and_b32_e32 v4, 0x7ffffffe, v68
	v_mov_b32_e32 v2, -1
	s_mov_b64 s[0:1], 0
	v_mov_b64_e32 v[0:1], v[66:67]
	v_mov_b32_e32 v5, v4
	v_mov_b32_e32 v3, -1
.LBB6_447:                              ; =>This Inner Loop Header: Depth=1
	flat_load_dwordx2 v[6:7], v[0:1]
	v_add_u32_e32 v5, -2, v5
	v_cmp_eq_u32_e32 vcc, 0, v5
	v_lshl_add_u64 v[0:1], v[0:1], 0, 8
	s_or_b64 s[0:1], vcc, s[0:1]
	s_waitcnt vmcnt(0) lgkmcnt(0)
	v_and_b32_e32 v3, v7, v3
	v_and_b32_e32 v2, v6, v2
	s_andn2_b64 exec, exec, s[0:1]
	s_cbranch_execnz .LBB6_447
; %bb.448:
	s_or_b64 exec, exec, s[0:1]
	v_and_b32_e32 v2, v2, v3
	v_cmp_ne_u32_e32 vcc, v68, v4
	s_and_saveexec_b64 s[2:3], vcc
	s_cbranch_execz .LBB6_452
; %bb.449:
	v_bfe_u32 v0, v68, 1, 30
	v_mov_b32_e32 v1, 0
	v_sub_u32_e32 v3, v68, v4
	v_lshl_add_u64 v[0:1], v[0:1], 3, v[66:67]
	s_mov_b64 s[4:5], 0
.LBB6_450:                              ; =>This Inner Loop Header: Depth=1
	flat_load_dword v5, v[0:1]
	v_add_u32_e32 v3, -1, v3
	v_cmp_eq_u32_e64 s[0:1], 0, v3
	v_lshl_add_u64 v[0:1], v[0:1], 0, 4
	s_or_b64 s[4:5], s[0:1], s[4:5]
	s_waitcnt vmcnt(0) lgkmcnt(0)
	v_and_b32_e32 v2, v5, v2
	s_andn2_b64 exec, exec, s[4:5]
	s_cbranch_execnz .LBB6_450
; %bb.451:
	s_or_b64 exec, exec, s[4:5]
.LBB6_452:
	s_or_b64 exec, exec, s[2:3]
	v_cmp_ne_u32_e64 s[0:1], 0, v2
	s_and_saveexec_b64 s[2:3], s[0:1]
	s_cbranch_execz .LBB6_459
; %bb.453:
	v_not_b32_e32 v0, v2
	v_mov_b32_e32 v1, v0
	s_mov_b64 s[4:5], 0
	v_mov_b64_e32 v[2:3], v[66:67]
	v_mov_b32_e32 v5, v4
.LBB6_454:                              ; =>This Inner Loop Header: Depth=1
	flat_load_dwordx2 v[6:7], v[2:3]
	v_add_u32_e32 v5, -2, v5
	v_cmp_eq_u32_e64 s[0:1], 0, v5
	s_or_b64 s[4:5], s[0:1], s[4:5]
	s_waitcnt vmcnt(0) lgkmcnt(0)
	v_and_b32_e32 v7, v7, v1
	v_and_b32_e32 v6, v6, v0
	flat_store_dwordx2 v[2:3], v[6:7]
	v_lshl_add_u64 v[2:3], v[2:3], 0, 8
	s_andn2_b64 exec, exec, s[4:5]
	s_cbranch_execnz .LBB6_454
; %bb.455:
	s_or_b64 exec, exec, s[4:5]
	s_and_saveexec_b64 s[0:1], vcc
	s_cbranch_execz .LBB6_458
; %bb.456:
	v_bfe_u32 v2, v68, 1, 30
	v_mov_b32_e32 v3, 0
	v_sub_u32_e32 v1, v68, v4
	v_lshl_add_u64 v[2:3], v[2:3], 3, v[66:67]
	s_mov_b64 s[4:5], 0
.LBB6_457:                              ; =>This Inner Loop Header: Depth=1
	flat_load_dword v4, v[2:3]
	v_add_u32_e32 v1, -1, v1
	v_cmp_eq_u32_e32 vcc, 0, v1
	s_or_b64 s[4:5], vcc, s[4:5]
	s_waitcnt vmcnt(0) lgkmcnt(0)
	v_and_b32_e32 v4, v4, v0
	flat_store_dword v[2:3], v4
	v_lshl_add_u64 v[2:3], v[2:3], 0, 4
	s_andn2_b64 exec, exec, s[4:5]
	s_cbranch_execnz .LBB6_457
.LBB6_458:
	s_or_b64 exec, exec, s[0:1]
	flat_load_dword v56, v[54:55] offset:4
.LBB6_459:
	s_or_b64 exec, exec, s[2:3]
	s_waitcnt vmcnt(0) lgkmcnt(0)
	v_cmp_ge_i32_e32 vcc, v56, v68
	s_mov_b64 s[22:23], 0
	s_mov_b64 s[44:45], s[26:27]
                                        ; implicit-def: $vgpr41
	s_and_saveexec_b64 s[0:1], vcc
	s_xor_b64 s[76:77], exec, s[0:1]
	s_cbranch_execz .LBB6_1915
; %bb.460:
	v_mov_b32_e32 v0, 0
	v_cmp_le_u32_e32 vcc, v68, v56
	s_mov_b64 s[0:1], -1
	v_mov_b64_e32 v[70:71], 0
	s_mov_b64 s[22:23], s[26:27]
	scratch_store_dword off, v0, s33 offset:108
	s_and_saveexec_b64 s[44:45], vcc
	s_cbranch_execz .LBB6_612
; %bb.461:
	flat_load_dword v2, v[58:59]
	v_cvt_f32_u32_e32 v0, v68
	v_sub_u32_e32 v1, 0, v68
	s_movk_i32 s2, 0x2001
	s_mov_b64 s[46:47], 0
	v_rcp_iflag_f32_e32 v0, v0
	v_mov_b64_e32 v[70:71], 0
	v_mul_f32_e32 v0, 0x4f7ffffe, v0
	v_cvt_u32_f32_e32 v0, v0
	v_mul_lo_u32 v1, v1, v0
	v_mul_hi_u32 v1, v0, v1
	v_add_u32_e32 v0, v0, v1
	v_mad_u64_u32 v[0:1], s[0:1], v56, v0, 0
	v_mul_lo_u32 v0, v1, v68
	v_sub_u32_e32 v0, v56, v0
	v_add_u32_e32 v3, 1, v1
	v_cmp_ge_u32_e32 vcc, v0, v68
	s_nop 1
	v_cndmask_b32_e32 v1, v1, v3, vcc
	v_sub_u32_e32 v3, v0, v68
	v_cndmask_b32_e32 v0, v0, v3, vcc
	v_add_u32_e32 v3, 1, v1
	v_cmp_ge_u32_e32 vcc, v0, v68
	s_nop 1
	v_cndmask_b32_e32 v0, v1, v3, vcc
	s_waitcnt vmcnt(0) lgkmcnt(0)
	v_add_u32_e32 v2, v2, v0
	v_cmp_gt_i32_e32 vcc, s2, v2
	s_and_saveexec_b64 s[0:1], vcc
	s_xor_b64 s[0:1], exec, s[0:1]
	s_cbranch_execz .LBB6_463
; %bb.462:
	v_ashrrev_i32_e32 v3, 31, v2
	v_mov_b32_e32 v1, 0
	flat_store_dword v[58:59], v2
	v_lshl_add_u64 v[2:3], v[2:3], 2, v[58:59]
	v_lshlrev_b64 v[0:1], 2, v[0:1]
	v_sub_co_u32_e32 v0, vcc, v2, v0
	s_mov_b64 s[46:47], exec
	s_nop 0
	v_subb_co_u32_e32 v1, vcc, v3, v1, vcc
	v_lshl_add_u64 v[70:71], v[0:1], 0, 4
.LBB6_463:
	s_or_saveexec_b64 s[22:23], s[0:1]
	s_mov_b64 s[0:1], s[26:27]
	s_xor_b64 exec, exec, s[22:23]
	s_cbranch_execz .LBB6_611
; %bb.464:
	s_load_dwordx2 s[2:3], s[64:65], 0x50
	v_mbcnt_lo_u32_b32 v0, -1, 0
	v_mbcnt_hi_u32_b32 v32, -1, v0
	v_mov_b64_e32 v[4:5], 0
	v_readfirstlane_b32 s0, v32
	s_nop 1
	v_cmp_eq_u32_e64 s[0:1], s0, v32
	s_and_saveexec_b64 s[4:5], s[0:1]
	s_cbranch_execz .LBB6_470
; %bb.465:
	v_mov_b32_e32 v0, 0
	s_waitcnt lgkmcnt(0)
	global_load_dwordx2 v[6:7], v0, s[2:3] offset:24 sc0 sc1
	s_waitcnt vmcnt(0)
	buffer_inv sc0 sc1
	global_load_dwordx2 v[2:3], v0, s[2:3] offset:40
	global_load_dwordx2 v[4:5], v0, s[2:3]
	s_waitcnt vmcnt(1)
	v_and_b32_e32 v1, v2, v6
	v_and_b32_e32 v2, v3, v7
	v_mul_lo_u32 v2, v2, 24
	v_mul_hi_u32 v3, v1, 24
	v_add_u32_e32 v3, v3, v2
	v_mul_lo_u32 v2, v1, 24
	s_waitcnt vmcnt(0)
	v_lshl_add_u64 v[2:3], v[4:5], 0, v[2:3]
	global_load_dwordx2 v[4:5], v[2:3], off sc0 sc1
	s_waitcnt vmcnt(0)
	global_atomic_cmpswap_x2 v[4:5], v0, v[4:7], s[2:3] offset:24 sc0 sc1
	s_waitcnt vmcnt(0)
	buffer_inv sc0 sc1
	v_cmp_ne_u64_e32 vcc, v[4:5], v[6:7]
	s_and_saveexec_b64 s[6:7], vcc
	s_cbranch_execz .LBB6_469
; %bb.466:
	s_mov_b64 s[8:9], 0
.LBB6_467:                              ; =>This Inner Loop Header: Depth=1
	s_sleep 1
	global_load_dwordx2 v[2:3], v0, s[2:3] offset:40
	global_load_dwordx2 v[8:9], v0, s[2:3]
	v_mov_b64_e32 v[6:7], v[4:5]
	s_waitcnt vmcnt(1)
	v_and_b32_e32 v2, v2, v6
	v_and_b32_e32 v1, v3, v7
	s_waitcnt vmcnt(0)
	v_mad_u64_u32 v[2:3], s[10:11], v2, 24, v[8:9]
	v_mov_b32_e32 v4, v3
	v_mad_u64_u32 v[4:5], s[10:11], v1, 24, v[4:5]
	v_mov_b32_e32 v3, v4
	global_load_dwordx2 v[4:5], v[2:3], off sc0 sc1
	s_waitcnt vmcnt(0)
	global_atomic_cmpswap_x2 v[4:5], v0, v[4:7], s[2:3] offset:24 sc0 sc1
	s_waitcnt vmcnt(0)
	buffer_inv sc0 sc1
	v_cmp_eq_u64_e32 vcc, v[4:5], v[6:7]
	s_or_b64 s[8:9], vcc, s[8:9]
	s_andn2_b64 exec, exec, s[8:9]
	s_cbranch_execnz .LBB6_467
; %bb.468:
	s_or_b64 exec, exec, s[8:9]
.LBB6_469:
	s_or_b64 exec, exec, s[6:7]
.LBB6_470:
	s_or_b64 exec, exec, s[4:5]
	v_mov_b32_e32 v27, 0
	s_waitcnt lgkmcnt(0)
	global_load_dwordx2 v[6:7], v27, s[2:3] offset:40
	global_load_dwordx4 v[0:3], v27, s[2:3]
	v_readfirstlane_b32 s5, v5
	v_readfirstlane_b32 s4, v4
	s_mov_b64 s[6:7], exec
	s_waitcnt vmcnt(0)
	v_readfirstlane_b32 s8, v6
	v_readfirstlane_b32 s9, v7
	s_and_b64 s[8:9], s[8:9], s[4:5]
	s_mul_i32 s10, s9, 24
	s_mul_hi_u32 s11, s8, 24
	s_add_i32 s11, s11, s10
	s_mul_i32 s10, s8, 24
	v_lshl_add_u64 v[4:5], v[0:1], 0, s[10:11]
	s_and_saveexec_b64 s[10:11], s[0:1]
	s_cbranch_execz .LBB6_472
; %bb.471:
	v_mov_b64_e32 v[6:7], s[6:7]
	v_mov_b32_e32 v8, 2
	v_mov_b32_e32 v9, 1
	global_store_dwordx4 v[4:5], v[6:9], off offset:8
.LBB6_472:
	s_or_b64 exec, exec, s[10:11]
	s_lshl_b64 s[6:7], s[8:9], 12
	v_lshl_add_u64 v[6:7], v[2:3], 0, s[6:7]
	s_mov_b32 s8, 0
	v_lshlrev_b32_e32 v26, 6, v32
	v_mov_b32_e32 v8, 33
	v_mov_b32_e32 v9, v27
	;; [unrolled: 1-line block ×4, first 2 shown]
	v_readfirstlane_b32 s6, v6
	v_readfirstlane_b32 s7, v7
	s_mov_b32 s9, s8
	s_mov_b32 s10, s8
	;; [unrolled: 1-line block ×3, first 2 shown]
	s_nop 1
	global_store_dwordx4 v26, v[8:11], s[6:7]
	s_nop 1
	v_mov_b64_e32 v[8:9], s[8:9]
	v_mov_b64_e32 v[10:11], s[10:11]
	global_store_dwordx4 v26, v[8:11], s[6:7] offset:16
	global_store_dwordx4 v26, v[8:11], s[6:7] offset:32
	;; [unrolled: 1-line block ×3, first 2 shown]
	s_and_saveexec_b64 s[6:7], s[0:1]
	s_cbranch_execz .LBB6_480
; %bb.473:
	v_mov_b32_e32 v10, 0
	global_load_dwordx2 v[14:15], v10, s[2:3] offset:32 sc0 sc1
	global_load_dwordx2 v[2:3], v10, s[2:3] offset:40
	v_mov_b32_e32 v12, s4
	v_mov_b32_e32 v13, s5
	s_waitcnt vmcnt(0)
	v_and_b32_e32 v2, s4, v2
	v_and_b32_e32 v3, s5, v3
	v_mul_lo_u32 v3, v3, 24
	v_mul_hi_u32 v8, v2, 24
	v_mul_lo_u32 v2, v2, 24
	v_add_u32_e32 v3, v8, v3
	v_lshl_add_u64 v[8:9], v[0:1], 0, v[2:3]
	global_store_dwordx2 v[8:9], v[14:15], off
	buffer_wbl2 sc0 sc1
	s_waitcnt vmcnt(0)
	global_atomic_cmpswap_x2 v[2:3], v10, v[12:15], s[2:3] offset:32 sc0 sc1
	s_waitcnt vmcnt(0)
	v_cmp_ne_u64_e32 vcc, v[2:3], v[14:15]
	s_and_saveexec_b64 s[8:9], vcc
	s_cbranch_execz .LBB6_476
; %bb.474:
	s_mov_b64 s[10:11], 0
.LBB6_475:                              ; =>This Inner Loop Header: Depth=1
	s_sleep 1
	global_store_dwordx2 v[8:9], v[2:3], off
	v_mov_b32_e32 v0, s4
	v_mov_b32_e32 v1, s5
	buffer_wbl2 sc0 sc1
	s_waitcnt vmcnt(0)
	global_atomic_cmpswap_x2 v[0:1], v10, v[0:3], s[2:3] offset:32 sc0 sc1
	s_waitcnt vmcnt(0)
	v_cmp_eq_u64_e32 vcc, v[0:1], v[2:3]
	s_or_b64 s[10:11], vcc, s[10:11]
	v_mov_b64_e32 v[2:3], v[0:1]
	s_andn2_b64 exec, exec, s[10:11]
	s_cbranch_execnz .LBB6_475
.LBB6_476:
	s_or_b64 exec, exec, s[8:9]
	v_mov_b32_e32 v3, 0
	global_load_dwordx2 v[0:1], v3, s[2:3] offset:16
	s_mov_b64 s[8:9], exec
	v_mbcnt_lo_u32_b32 v2, s8, 0
	v_mbcnt_hi_u32_b32 v2, s9, v2
	v_cmp_eq_u32_e32 vcc, 0, v2
	s_and_saveexec_b64 s[10:11], vcc
	s_cbranch_execz .LBB6_478
; %bb.477:
	s_bcnt1_i32_b64 s8, s[8:9]
	v_mov_b32_e32 v2, s8
	buffer_wbl2 sc0 sc1
	s_waitcnt vmcnt(0)
	global_atomic_add_x2 v[0:1], v[2:3], off offset:8 sc1
.LBB6_478:
	s_or_b64 exec, exec, s[10:11]
	s_waitcnt vmcnt(0)
	global_load_dwordx2 v[2:3], v[0:1], off offset:16
	s_waitcnt vmcnt(0)
	v_cmp_eq_u64_e32 vcc, 0, v[2:3]
	s_cbranch_vccnz .LBB6_480
; %bb.479:
	global_load_dword v0, v[0:1], off offset:24
	v_mov_b32_e32 v1, 0
	s_waitcnt vmcnt(0)
	v_readfirstlane_b32 s8, v0
	s_and_b32 m0, s8, 0xffffff
	buffer_wbl2 sc0 sc1
	global_store_dwordx2 v[2:3], v[0:1], off sc0 sc1
	s_sendmsg sendmsg(MSG_INTERRUPT)
.LBB6_480:
	s_or_b64 exec, exec, s[6:7]
	v_lshl_add_u64 v[0:1], v[6:7], 0, v[26:27]
	s_branch .LBB6_484
.LBB6_481:                              ;   in Loop: Header=BB6_484 Depth=1
	s_or_b64 exec, exec, s[6:7]
	v_readfirstlane_b32 s6, v2
	s_cmp_eq_u32 s6, 0
	s_cbranch_scc1 .LBB6_483
; %bb.482:                              ;   in Loop: Header=BB6_484 Depth=1
	s_sleep 1
	s_cbranch_execnz .LBB6_484
	s_branch .LBB6_486
.LBB6_483:
	s_branch .LBB6_486
.LBB6_484:                              ; =>This Inner Loop Header: Depth=1
	v_mov_b32_e32 v2, 1
	s_and_saveexec_b64 s[6:7], s[0:1]
	s_cbranch_execz .LBB6_481
; %bb.485:                              ;   in Loop: Header=BB6_484 Depth=1
	global_load_dword v2, v[4:5], off offset:20 sc0 sc1
	s_waitcnt vmcnt(0)
	buffer_inv sc0 sc1
	v_and_b32_e32 v2, 1, v2
	s_branch .LBB6_481
.LBB6_486:
	global_load_dwordx2 v[0:1], v[0:1], off
	s_and_saveexec_b64 s[6:7], s[0:1]
	s_cbranch_execz .LBB6_489
; %bb.487:
	v_mov_b32_e32 v8, 0
	global_load_dwordx2 v[2:3], v8, s[2:3] offset:40
	global_load_dwordx2 v[12:13], v8, s[2:3] offset:24 sc0 sc1
	global_load_dwordx2 v[4:5], v8, s[2:3]
	s_waitcnt vmcnt(2)
	v_readfirstlane_b32 s8, v2
	v_readfirstlane_b32 s9, v3
	s_add_u32 s10, s8, 1
	s_addc_u32 s11, s9, 0
	s_add_u32 s0, s10, s4
	s_addc_u32 s1, s11, s5
	s_cmp_eq_u64 s[0:1], 0
	s_cselect_b32 s1, s11, s1
	s_cselect_b32 s0, s10, s0
	s_and_b64 s[4:5], s[0:1], s[8:9]
	s_mul_i32 s5, s5, 24
	s_mul_hi_u32 s8, s4, 24
	s_mul_i32 s4, s4, 24
	s_add_i32 s5, s8, s5
	s_waitcnt vmcnt(0)
	v_lshl_add_u64 v[6:7], v[4:5], 0, s[4:5]
	v_mov_b32_e32 v10, s0
	global_store_dwordx2 v[6:7], v[12:13], off
	v_mov_b32_e32 v11, s1
	buffer_wbl2 sc0 sc1
	s_waitcnt vmcnt(0)
	global_atomic_cmpswap_x2 v[4:5], v8, v[10:13], s[2:3] offset:24 sc0 sc1
	s_mov_b64 s[4:5], 0
	s_waitcnt vmcnt(0)
	v_cmp_ne_u64_e32 vcc, v[4:5], v[12:13]
	s_and_b64 exec, exec, vcc
	s_cbranch_execz .LBB6_489
.LBB6_488:                              ; =>This Inner Loop Header: Depth=1
	s_sleep 1
	global_store_dwordx2 v[6:7], v[4:5], off
	v_mov_b32_e32 v2, s0
	v_mov_b32_e32 v3, s1
	buffer_wbl2 sc0 sc1
	s_waitcnt vmcnt(0)
	global_atomic_cmpswap_x2 v[2:3], v8, v[2:5], s[2:3] offset:24 sc0 sc1
	s_waitcnt vmcnt(0)
	v_cmp_eq_u64_e32 vcc, v[2:3], v[4:5]
	s_or_b64 s[4:5], vcc, s[4:5]
	v_mov_b64_e32 v[4:5], v[2:3]
	s_andn2_b64 exec, exec, s[4:5]
	s_cbranch_execnz .LBB6_488
.LBB6_489:
	s_or_b64 exec, exec, s[6:7]
	s_getpc_b64 s[4:5]
	s_add_u32 s4, s4, .str.28@rel32@lo+4
	s_addc_u32 s5, s5, .str.28@rel32@hi+12
	s_cmp_lg_u64 s[4:5], 0
	s_cbranch_scc0 .LBB6_582
; %bb.490:
	s_waitcnt vmcnt(0)
	v_and_b32_e32 v6, -3, v0
	v_mov_b32_e32 v7, v1
	s_mov_b64 s[6:7], 35
	v_mov_b32_e32 v29, 0
	v_mov_b32_e32 v4, 2
	;; [unrolled: 1-line block ×3, first 2 shown]
	s_branch .LBB6_492
.LBB6_491:                              ;   in Loop: Header=BB6_492 Depth=1
	s_or_b64 exec, exec, s[12:13]
	s_sub_u32 s6, s6, s8
	s_subb_u32 s7, s7, s9
	s_add_u32 s4, s4, s8
	s_addc_u32 s5, s5, s9
	s_cmp_lg_u64 s[6:7], 0
	s_cbranch_scc0 .LBB6_581
.LBB6_492:                              ; =>This Loop Header: Depth=1
                                        ;     Child Loop BB6_495 Depth 2
                                        ;     Child Loop BB6_504 Depth 2
	;; [unrolled: 1-line block ×11, first 2 shown]
	v_cmp_lt_u64_e64 s[0:1], s[6:7], 56
	s_and_b64 s[0:1], s[0:1], exec
	s_cselect_b32 s9, s7, 0
	s_cselect_b32 s8, s6, 56
	v_cmp_gt_u64_e64 s[10:11], s[6:7], 7
	s_add_u32 s0, s4, 8
	s_addc_u32 s1, s5, 0
	s_and_b64 vcc, exec, s[10:11]
	s_cbranch_vccnz .LBB6_496
; %bb.493:                              ;   in Loop: Header=BB6_492 Depth=1
	s_cmp_eq_u64 s[6:7], 0
	s_cbranch_scc1 .LBB6_497
; %bb.494:                              ;   in Loop: Header=BB6_492 Depth=1
	s_lshl_b64 s[0:1], s[8:9], 3
	s_mov_b64 s[10:11], 0
	s_waitcnt vmcnt(0)
	v_mov_b64_e32 v[8:9], 0
	s_mov_b64 s[12:13], s[4:5]
.LBB6_495:                              ;   Parent Loop BB6_492 Depth=1
                                        ; =>  This Inner Loop Header: Depth=2
	global_load_ubyte v2, v29, s[12:13]
	s_waitcnt vmcnt(0)
	v_and_b32_e32 v28, 0xffff, v2
	v_lshlrev_b64 v[2:3], s10, v[28:29]
	s_add_u32 s10, s10, 8
	s_addc_u32 s11, s11, 0
	s_add_u32 s12, s12, 1
	s_addc_u32 s13, s13, 0
	v_or_b32_e32 v8, v2, v8
	s_cmp_lg_u32 s0, s10
	v_or_b32_e32 v9, v3, v9
	s_cbranch_scc1 .LBB6_495
	s_branch .LBB6_498
.LBB6_496:                              ;   in Loop: Header=BB6_492 Depth=1
	s_mov_b64 s[10:11], -1
	s_branch .LBB6_499
.LBB6_497:                              ;   in Loop: Header=BB6_492 Depth=1
	s_waitcnt vmcnt(0)
	v_mov_b64_e32 v[8:9], 0
.LBB6_498:                              ;   in Loop: Header=BB6_492 Depth=1
	s_mov_b64 s[10:11], 0
	s_mov_b64 s[0:1], s[4:5]
.LBB6_499:                              ;   in Loop: Header=BB6_492 Depth=1
	s_andn2_b64 vcc, exec, s[10:11]
	s_mov_b32 s14, 0
	s_cbranch_vccnz .LBB6_501
; %bb.500:                              ;   in Loop: Header=BB6_492 Depth=1
	global_load_dwordx2 v[8:9], v29, s[4:5]
	s_add_i32 s14, s8, -8
.LBB6_501:                              ;   in Loop: Header=BB6_492 Depth=1
	s_add_u32 s10, s0, 8
	s_addc_u32 s11, s1, 0
	s_cmp_gt_u32 s14, 7
	s_cbranch_scc1 .LBB6_505
; %bb.502:                              ;   in Loop: Header=BB6_492 Depth=1
	s_cmp_eq_u32 s14, 0
	s_cbranch_scc1 .LBB6_506
; %bb.503:                              ;   in Loop: Header=BB6_492 Depth=1
	s_mov_b64 s[10:11], 0
	v_mov_b64_e32 v[10:11], 0
	s_mov_b64 s[12:13], 0
.LBB6_504:                              ;   Parent Loop BB6_492 Depth=1
                                        ; =>  This Inner Loop Header: Depth=2
	s_add_u32 s16, s0, s12
	s_addc_u32 s17, s1, s13
	global_load_ubyte v2, v29, s[16:17]
	s_add_u32 s12, s12, 1
	s_addc_u32 s13, s13, 0
	s_waitcnt vmcnt(0)
	v_and_b32_e32 v28, 0xffff, v2
	v_lshlrev_b64 v[2:3], s10, v[28:29]
	s_add_u32 s10, s10, 8
	s_addc_u32 s11, s11, 0
	v_or_b32_e32 v10, v2, v10
	s_cmp_lg_u32 s14, s12
	v_or_b32_e32 v11, v3, v11
	s_cbranch_scc1 .LBB6_504
	s_branch .LBB6_507
.LBB6_505:                              ;   in Loop: Header=BB6_492 Depth=1
	s_mov_b64 s[12:13], -1
                                        ; implicit-def: $vgpr10_vgpr11
	s_branch .LBB6_508
.LBB6_506:                              ;   in Loop: Header=BB6_492 Depth=1
	v_mov_b64_e32 v[10:11], 0
.LBB6_507:                              ;   in Loop: Header=BB6_492 Depth=1
	s_mov_b64 s[12:13], 0
	s_mov_b64 s[10:11], s[0:1]
.LBB6_508:                              ;   in Loop: Header=BB6_492 Depth=1
	s_andn2_b64 vcc, exec, s[12:13]
	s_mov_b32 s15, 0
	s_cbranch_vccnz .LBB6_510
; %bb.509:                              ;   in Loop: Header=BB6_492 Depth=1
	global_load_dwordx2 v[10:11], v29, s[0:1]
	s_add_i32 s15, s14, -8
.LBB6_510:                              ;   in Loop: Header=BB6_492 Depth=1
	s_add_u32 s0, s10, 8
	s_addc_u32 s1, s11, 0
	s_cmp_gt_u32 s15, 7
	s_cbranch_scc1 .LBB6_514
; %bb.511:                              ;   in Loop: Header=BB6_492 Depth=1
	s_cmp_eq_u32 s15, 0
	s_cbranch_scc1 .LBB6_515
; %bb.512:                              ;   in Loop: Header=BB6_492 Depth=1
	s_mov_b64 s[0:1], 0
	v_mov_b64_e32 v[12:13], 0
	s_mov_b64 s[12:13], 0
.LBB6_513:                              ;   Parent Loop BB6_492 Depth=1
                                        ; =>  This Inner Loop Header: Depth=2
	s_add_u32 s16, s10, s12
	s_addc_u32 s17, s11, s13
	global_load_ubyte v2, v29, s[16:17]
	s_add_u32 s12, s12, 1
	s_addc_u32 s13, s13, 0
	s_waitcnt vmcnt(0)
	v_and_b32_e32 v28, 0xffff, v2
	v_lshlrev_b64 v[2:3], s0, v[28:29]
	s_add_u32 s0, s0, 8
	s_addc_u32 s1, s1, 0
	v_or_b32_e32 v12, v2, v12
	s_cmp_lg_u32 s15, s12
	v_or_b32_e32 v13, v3, v13
	s_cbranch_scc1 .LBB6_513
	s_branch .LBB6_516
.LBB6_514:                              ;   in Loop: Header=BB6_492 Depth=1
	s_mov_b64 s[12:13], -1
	s_branch .LBB6_517
.LBB6_515:                              ;   in Loop: Header=BB6_492 Depth=1
	v_mov_b64_e32 v[12:13], 0
.LBB6_516:                              ;   in Loop: Header=BB6_492 Depth=1
	s_mov_b64 s[12:13], 0
	s_mov_b64 s[0:1], s[10:11]
.LBB6_517:                              ;   in Loop: Header=BB6_492 Depth=1
	s_andn2_b64 vcc, exec, s[12:13]
	s_mov_b32 s14, 0
	s_cbranch_vccnz .LBB6_519
; %bb.518:                              ;   in Loop: Header=BB6_492 Depth=1
	global_load_dwordx2 v[12:13], v29, s[10:11]
	s_add_i32 s14, s15, -8
.LBB6_519:                              ;   in Loop: Header=BB6_492 Depth=1
	s_add_u32 s10, s0, 8
	s_addc_u32 s11, s1, 0
	s_cmp_gt_u32 s14, 7
	s_cbranch_scc1 .LBB6_523
; %bb.520:                              ;   in Loop: Header=BB6_492 Depth=1
	s_cmp_eq_u32 s14, 0
	s_cbranch_scc1 .LBB6_524
; %bb.521:                              ;   in Loop: Header=BB6_492 Depth=1
	s_mov_b64 s[10:11], 0
	v_mov_b64_e32 v[14:15], 0
	s_mov_b64 s[12:13], 0
.LBB6_522:                              ;   Parent Loop BB6_492 Depth=1
                                        ; =>  This Inner Loop Header: Depth=2
	s_add_u32 s16, s0, s12
	s_addc_u32 s17, s1, s13
	global_load_ubyte v2, v29, s[16:17]
	s_add_u32 s12, s12, 1
	s_addc_u32 s13, s13, 0
	s_waitcnt vmcnt(0)
	v_and_b32_e32 v28, 0xffff, v2
	v_lshlrev_b64 v[2:3], s10, v[28:29]
	s_add_u32 s10, s10, 8
	s_addc_u32 s11, s11, 0
	v_or_b32_e32 v14, v2, v14
	s_cmp_lg_u32 s14, s12
	v_or_b32_e32 v15, v3, v15
	s_cbranch_scc1 .LBB6_522
	s_branch .LBB6_525
.LBB6_523:                              ;   in Loop: Header=BB6_492 Depth=1
	s_mov_b64 s[12:13], -1
                                        ; implicit-def: $vgpr14_vgpr15
	s_branch .LBB6_526
.LBB6_524:                              ;   in Loop: Header=BB6_492 Depth=1
	v_mov_b64_e32 v[14:15], 0
.LBB6_525:                              ;   in Loop: Header=BB6_492 Depth=1
	s_mov_b64 s[12:13], 0
	s_mov_b64 s[10:11], s[0:1]
.LBB6_526:                              ;   in Loop: Header=BB6_492 Depth=1
	s_andn2_b64 vcc, exec, s[12:13]
	s_mov_b32 s15, 0
	s_cbranch_vccnz .LBB6_528
; %bb.527:                              ;   in Loop: Header=BB6_492 Depth=1
	global_load_dwordx2 v[14:15], v29, s[0:1]
	s_add_i32 s15, s14, -8
.LBB6_528:                              ;   in Loop: Header=BB6_492 Depth=1
	s_add_u32 s0, s10, 8
	s_addc_u32 s1, s11, 0
	s_cmp_gt_u32 s15, 7
	s_cbranch_scc1 .LBB6_532
; %bb.529:                              ;   in Loop: Header=BB6_492 Depth=1
	s_cmp_eq_u32 s15, 0
	s_cbranch_scc1 .LBB6_533
; %bb.530:                              ;   in Loop: Header=BB6_492 Depth=1
	s_mov_b64 s[0:1], 0
	v_mov_b64_e32 v[16:17], 0
	s_mov_b64 s[12:13], 0
.LBB6_531:                              ;   Parent Loop BB6_492 Depth=1
                                        ; =>  This Inner Loop Header: Depth=2
	s_add_u32 s16, s10, s12
	s_addc_u32 s17, s11, s13
	global_load_ubyte v2, v29, s[16:17]
	s_add_u32 s12, s12, 1
	s_addc_u32 s13, s13, 0
	s_waitcnt vmcnt(0)
	v_and_b32_e32 v28, 0xffff, v2
	v_lshlrev_b64 v[2:3], s0, v[28:29]
	s_add_u32 s0, s0, 8
	s_addc_u32 s1, s1, 0
	v_or_b32_e32 v16, v2, v16
	s_cmp_lg_u32 s15, s12
	v_or_b32_e32 v17, v3, v17
	s_cbranch_scc1 .LBB6_531
	s_branch .LBB6_534
.LBB6_532:                              ;   in Loop: Header=BB6_492 Depth=1
	s_mov_b64 s[12:13], -1
	s_branch .LBB6_535
.LBB6_533:                              ;   in Loop: Header=BB6_492 Depth=1
	v_mov_b64_e32 v[16:17], 0
.LBB6_534:                              ;   in Loop: Header=BB6_492 Depth=1
	s_mov_b64 s[12:13], 0
	s_mov_b64 s[0:1], s[10:11]
.LBB6_535:                              ;   in Loop: Header=BB6_492 Depth=1
	s_andn2_b64 vcc, exec, s[12:13]
	s_mov_b32 s14, 0
	s_cbranch_vccnz .LBB6_537
; %bb.536:                              ;   in Loop: Header=BB6_492 Depth=1
	global_load_dwordx2 v[16:17], v29, s[10:11]
	s_add_i32 s14, s15, -8
.LBB6_537:                              ;   in Loop: Header=BB6_492 Depth=1
	s_add_u32 s10, s0, 8
	s_addc_u32 s11, s1, 0
	s_cmp_gt_u32 s14, 7
	s_cbranch_scc1 .LBB6_541
; %bb.538:                              ;   in Loop: Header=BB6_492 Depth=1
	s_cmp_eq_u32 s14, 0
	s_cbranch_scc1 .LBB6_542
; %bb.539:                              ;   in Loop: Header=BB6_492 Depth=1
	s_mov_b64 s[10:11], 0
	v_mov_b64_e32 v[18:19], 0
	s_mov_b64 s[12:13], 0
.LBB6_540:                              ;   Parent Loop BB6_492 Depth=1
                                        ; =>  This Inner Loop Header: Depth=2
	s_add_u32 s16, s0, s12
	s_addc_u32 s17, s1, s13
	global_load_ubyte v2, v29, s[16:17]
	s_add_u32 s12, s12, 1
	s_addc_u32 s13, s13, 0
	s_waitcnt vmcnt(0)
	v_and_b32_e32 v28, 0xffff, v2
	v_lshlrev_b64 v[2:3], s10, v[28:29]
	s_add_u32 s10, s10, 8
	s_addc_u32 s11, s11, 0
	v_or_b32_e32 v18, v2, v18
	s_cmp_lg_u32 s14, s12
	v_or_b32_e32 v19, v3, v19
	s_cbranch_scc1 .LBB6_540
	s_branch .LBB6_543
.LBB6_541:                              ;   in Loop: Header=BB6_492 Depth=1
	s_mov_b64 s[12:13], -1
                                        ; implicit-def: $vgpr18_vgpr19
	s_branch .LBB6_544
.LBB6_542:                              ;   in Loop: Header=BB6_492 Depth=1
	v_mov_b64_e32 v[18:19], 0
.LBB6_543:                              ;   in Loop: Header=BB6_492 Depth=1
	s_mov_b64 s[12:13], 0
	s_mov_b64 s[10:11], s[0:1]
.LBB6_544:                              ;   in Loop: Header=BB6_492 Depth=1
	s_andn2_b64 vcc, exec, s[12:13]
	s_mov_b32 s15, 0
	s_cbranch_vccnz .LBB6_546
; %bb.545:                              ;   in Loop: Header=BB6_492 Depth=1
	global_load_dwordx2 v[18:19], v29, s[0:1]
	s_add_i32 s15, s14, -8
.LBB6_546:                              ;   in Loop: Header=BB6_492 Depth=1
	s_cmp_gt_u32 s15, 7
	s_cbranch_scc1 .LBB6_550
; %bb.547:                              ;   in Loop: Header=BB6_492 Depth=1
	s_cmp_eq_u32 s15, 0
	s_cbranch_scc1 .LBB6_551
; %bb.548:                              ;   in Loop: Header=BB6_492 Depth=1
	s_mov_b64 s[0:1], 0
	v_mov_b64_e32 v[20:21], 0
	s_mov_b64 s[12:13], s[10:11]
.LBB6_549:                              ;   Parent Loop BB6_492 Depth=1
                                        ; =>  This Inner Loop Header: Depth=2
	global_load_ubyte v2, v29, s[12:13]
	s_add_i32 s15, s15, -1
	s_waitcnt vmcnt(0)
	v_and_b32_e32 v28, 0xffff, v2
	v_lshlrev_b64 v[2:3], s0, v[28:29]
	s_add_u32 s0, s0, 8
	s_addc_u32 s1, s1, 0
	s_add_u32 s12, s12, 1
	s_addc_u32 s13, s13, 0
	v_or_b32_e32 v20, v2, v20
	s_cmp_lg_u32 s15, 0
	v_or_b32_e32 v21, v3, v21
	s_cbranch_scc1 .LBB6_549
	s_branch .LBB6_552
.LBB6_550:                              ;   in Loop: Header=BB6_492 Depth=1
	s_mov_b64 s[0:1], -1
	s_branch .LBB6_553
.LBB6_551:                              ;   in Loop: Header=BB6_492 Depth=1
	v_mov_b64_e32 v[20:21], 0
.LBB6_552:                              ;   in Loop: Header=BB6_492 Depth=1
	s_mov_b64 s[0:1], 0
.LBB6_553:                              ;   in Loop: Header=BB6_492 Depth=1
	s_andn2_b64 vcc, exec, s[0:1]
	s_cbranch_vccnz .LBB6_555
; %bb.554:                              ;   in Loop: Header=BB6_492 Depth=1
	global_load_dwordx2 v[20:21], v29, s[10:11]
.LBB6_555:                              ;   in Loop: Header=BB6_492 Depth=1
	v_readfirstlane_b32 s0, v32
	v_mov_b64_e32 v[2:3], 0
	s_nop 0
	v_cmp_eq_u32_e64 s[0:1], s0, v32
	s_and_saveexec_b64 s[10:11], s[0:1]
	s_cbranch_execz .LBB6_561
; %bb.556:                              ;   in Loop: Header=BB6_492 Depth=1
	global_load_dwordx2 v[24:25], v29, s[2:3] offset:24 sc0 sc1
	s_waitcnt vmcnt(0)
	buffer_inv sc0 sc1
	global_load_dwordx2 v[2:3], v29, s[2:3] offset:40
	global_load_dwordx2 v[22:23], v29, s[2:3]
	s_waitcnt vmcnt(1)
	v_and_b32_e32 v2, v2, v24
	v_and_b32_e32 v3, v3, v25
	v_mul_lo_u32 v3, v3, 24
	v_mul_hi_u32 v27, v2, 24
	v_add_u32_e32 v3, v27, v3
	v_mul_lo_u32 v2, v2, 24
	s_waitcnt vmcnt(0)
	v_lshl_add_u64 v[2:3], v[22:23], 0, v[2:3]
	global_load_dwordx2 v[22:23], v[2:3], off sc0 sc1
	s_waitcnt vmcnt(0)
	global_atomic_cmpswap_x2 v[2:3], v29, v[22:25], s[2:3] offset:24 sc0 sc1
	s_waitcnt vmcnt(0)
	buffer_inv sc0 sc1
	v_cmp_ne_u64_e32 vcc, v[2:3], v[24:25]
	s_and_saveexec_b64 s[12:13], vcc
	s_cbranch_execz .LBB6_560
; %bb.557:                              ;   in Loop: Header=BB6_492 Depth=1
	s_mov_b64 s[14:15], 0
.LBB6_558:                              ;   Parent Loop BB6_492 Depth=1
                                        ; =>  This Inner Loop Header: Depth=2
	s_sleep 1
	global_load_dwordx2 v[22:23], v29, s[2:3] offset:40
	global_load_dwordx2 v[30:31], v29, s[2:3]
	v_mov_b64_e32 v[24:25], v[2:3]
	s_waitcnt vmcnt(1)
	v_and_b32_e32 v2, v22, v24
	s_waitcnt vmcnt(0)
	v_mad_u64_u32 v[2:3], s[16:17], v2, 24, v[30:31]
	v_and_b32_e32 v23, v23, v25
	v_mov_b32_e32 v22, v3
	v_mad_u64_u32 v[22:23], s[16:17], v23, 24, v[22:23]
	v_mov_b32_e32 v3, v22
	global_load_dwordx2 v[22:23], v[2:3], off sc0 sc1
	s_waitcnt vmcnt(0)
	global_atomic_cmpswap_x2 v[2:3], v29, v[22:25], s[2:3] offset:24 sc0 sc1
	s_waitcnt vmcnt(0)
	buffer_inv sc0 sc1
	v_cmp_eq_u64_e32 vcc, v[2:3], v[24:25]
	s_or_b64 s[14:15], vcc, s[14:15]
	s_andn2_b64 exec, exec, s[14:15]
	s_cbranch_execnz .LBB6_558
; %bb.559:                              ;   in Loop: Header=BB6_492 Depth=1
	s_or_b64 exec, exec, s[14:15]
.LBB6_560:                              ;   in Loop: Header=BB6_492 Depth=1
	s_or_b64 exec, exec, s[12:13]
.LBB6_561:                              ;   in Loop: Header=BB6_492 Depth=1
	s_or_b64 exec, exec, s[10:11]
	global_load_dwordx2 v[30:31], v29, s[2:3] offset:40
	global_load_dwordx4 v[22:25], v29, s[2:3]
	v_readfirstlane_b32 s11, v3
	v_readfirstlane_b32 s10, v2
	s_mov_b64 s[12:13], exec
	s_waitcnt vmcnt(1)
	v_readfirstlane_b32 s14, v30
	v_readfirstlane_b32 s15, v31
	s_and_b64 s[14:15], s[14:15], s[10:11]
	s_mul_i32 s16, s15, 24
	s_mul_hi_u32 s17, s14, 24
	s_add_i32 s17, s17, s16
	s_mul_i32 s16, s14, 24
	s_waitcnt vmcnt(0)
	v_lshl_add_u64 v[30:31], v[22:23], 0, s[16:17]
	s_and_saveexec_b64 s[16:17], s[0:1]
	s_cbranch_execz .LBB6_563
; %bb.562:                              ;   in Loop: Header=BB6_492 Depth=1
	v_mov_b64_e32 v[2:3], s[12:13]
	global_store_dwordx4 v[30:31], v[2:5], off offset:8
.LBB6_563:                              ;   in Loop: Header=BB6_492 Depth=1
	s_or_b64 exec, exec, s[16:17]
	s_lshl_b64 s[12:13], s[14:15], 12
	v_lshl_add_u64 v[2:3], v[24:25], 0, s[12:13]
	v_cmp_gt_u64_e64 s[12:13], s[6:7], 56
	s_and_b64 s[12:13], s[12:13], exec
	s_cselect_b32 s12, 0, 2
	s_lshl_b32 s13, s8, 2
	s_add_i32 s13, s13, 28
	v_and_b32_e32 v6, 0xffffff1f, v6
	s_and_b32 s13, s13, 0x1e0
	v_or_b32_e32 v6, s12, v6
	v_or_b32_e32 v6, s13, v6
	v_readfirstlane_b32 s12, v2
	v_readfirstlane_b32 s13, v3
	s_nop 4
	global_store_dwordx4 v26, v[6:9], s[12:13]
	global_store_dwordx4 v26, v[10:13], s[12:13] offset:16
	global_store_dwordx4 v26, v[14:17], s[12:13] offset:32
	;; [unrolled: 1-line block ×3, first 2 shown]
	s_and_saveexec_b64 s[12:13], s[0:1]
	s_cbranch_execz .LBB6_571
; %bb.564:                              ;   in Loop: Header=BB6_492 Depth=1
	global_load_dwordx2 v[14:15], v29, s[2:3] offset:32 sc0 sc1
	global_load_dwordx2 v[6:7], v29, s[2:3] offset:40
	v_mov_b32_e32 v12, s10
	v_mov_b32_e32 v13, s11
	s_waitcnt vmcnt(0)
	v_readfirstlane_b32 s14, v6
	v_readfirstlane_b32 s15, v7
	s_and_b64 s[14:15], s[14:15], s[10:11]
	s_mul_i32 s15, s15, 24
	s_mul_hi_u32 s16, s14, 24
	s_mul_i32 s14, s14, 24
	s_add_i32 s15, s16, s15
	v_lshl_add_u64 v[10:11], v[22:23], 0, s[14:15]
	global_store_dwordx2 v[10:11], v[14:15], off
	buffer_wbl2 sc0 sc1
	s_waitcnt vmcnt(0)
	global_atomic_cmpswap_x2 v[8:9], v29, v[12:15], s[2:3] offset:32 sc0 sc1
	s_waitcnt vmcnt(0)
	v_cmp_ne_u64_e32 vcc, v[8:9], v[14:15]
	s_and_saveexec_b64 s[14:15], vcc
	s_cbranch_execz .LBB6_567
; %bb.565:                              ;   in Loop: Header=BB6_492 Depth=1
	s_mov_b64 s[16:17], 0
.LBB6_566:                              ;   Parent Loop BB6_492 Depth=1
                                        ; =>  This Inner Loop Header: Depth=2
	s_sleep 1
	global_store_dwordx2 v[10:11], v[8:9], off
	v_mov_b32_e32 v6, s10
	v_mov_b32_e32 v7, s11
	buffer_wbl2 sc0 sc1
	s_waitcnt vmcnt(0)
	global_atomic_cmpswap_x2 v[6:7], v29, v[6:9], s[2:3] offset:32 sc0 sc1
	s_waitcnt vmcnt(0)
	v_cmp_eq_u64_e32 vcc, v[6:7], v[8:9]
	s_or_b64 s[16:17], vcc, s[16:17]
	v_mov_b64_e32 v[8:9], v[6:7]
	s_andn2_b64 exec, exec, s[16:17]
	s_cbranch_execnz .LBB6_566
.LBB6_567:                              ;   in Loop: Header=BB6_492 Depth=1
	s_or_b64 exec, exec, s[14:15]
	global_load_dwordx2 v[6:7], v29, s[2:3] offset:16
	s_mov_b64 s[16:17], exec
	v_mbcnt_lo_u32_b32 v8, s16, 0
	v_mbcnt_hi_u32_b32 v8, s17, v8
	v_cmp_eq_u32_e32 vcc, 0, v8
	s_and_saveexec_b64 s[14:15], vcc
	s_cbranch_execz .LBB6_569
; %bb.568:                              ;   in Loop: Header=BB6_492 Depth=1
	s_bcnt1_i32_b64 s16, s[16:17]
	v_mov_b32_e32 v28, s16
	buffer_wbl2 sc0 sc1
	s_waitcnt vmcnt(0)
	global_atomic_add_x2 v[6:7], v[28:29], off offset:8 sc1
.LBB6_569:                              ;   in Loop: Header=BB6_492 Depth=1
	s_or_b64 exec, exec, s[14:15]
	s_waitcnt vmcnt(0)
	global_load_dwordx2 v[8:9], v[6:7], off offset:16
	s_waitcnt vmcnt(0)
	v_cmp_eq_u64_e32 vcc, 0, v[8:9]
	s_cbranch_vccnz .LBB6_571
; %bb.570:                              ;   in Loop: Header=BB6_492 Depth=1
	global_load_dword v28, v[6:7], off offset:24
	s_waitcnt vmcnt(0)
	v_readfirstlane_b32 s14, v28
	s_and_b32 m0, s14, 0xffffff
	buffer_wbl2 sc0 sc1
	global_store_dwordx2 v[8:9], v[28:29], off sc0 sc1
	s_sendmsg sendmsg(MSG_INTERRUPT)
.LBB6_571:                              ;   in Loop: Header=BB6_492 Depth=1
	s_or_b64 exec, exec, s[12:13]
	v_mov_b32_e32 v27, v29
	v_lshl_add_u64 v[2:3], v[2:3], 0, v[26:27]
	s_branch .LBB6_575
.LBB6_572:                              ;   in Loop: Header=BB6_575 Depth=2
	s_or_b64 exec, exec, s[12:13]
	v_readfirstlane_b32 s12, v6
	s_cmp_eq_u32 s12, 0
	s_cbranch_scc1 .LBB6_574
; %bb.573:                              ;   in Loop: Header=BB6_575 Depth=2
	s_sleep 1
	s_cbranch_execnz .LBB6_575
	s_branch .LBB6_577
.LBB6_574:                              ;   in Loop: Header=BB6_492 Depth=1
	s_branch .LBB6_577
.LBB6_575:                              ;   Parent Loop BB6_492 Depth=1
                                        ; =>  This Inner Loop Header: Depth=2
	v_mov_b32_e32 v6, 1
	s_and_saveexec_b64 s[12:13], s[0:1]
	s_cbranch_execz .LBB6_572
; %bb.576:                              ;   in Loop: Header=BB6_575 Depth=2
	global_load_dword v6, v[30:31], off offset:20 sc0 sc1
	s_waitcnt vmcnt(0)
	buffer_inv sc0 sc1
	v_and_b32_e32 v6, 1, v6
	s_branch .LBB6_572
.LBB6_577:                              ;   in Loop: Header=BB6_492 Depth=1
	global_load_dwordx4 v[6:9], v[2:3], off
	s_and_saveexec_b64 s[12:13], s[0:1]
	s_cbranch_execz .LBB6_491
; %bb.578:                              ;   in Loop: Header=BB6_492 Depth=1
	global_load_dwordx2 v[2:3], v29, s[2:3] offset:40
	global_load_dwordx2 v[12:13], v29, s[2:3] offset:24 sc0 sc1
	global_load_dwordx2 v[8:9], v29, s[2:3]
	s_waitcnt vmcnt(2)
	v_readfirstlane_b32 s14, v2
	v_readfirstlane_b32 s15, v3
	s_add_u32 s16, s14, 1
	s_addc_u32 s17, s15, 0
	s_add_u32 s0, s16, s10
	s_addc_u32 s1, s17, s11
	s_cmp_eq_u64 s[0:1], 0
	s_cselect_b32 s1, s17, s1
	s_cselect_b32 s0, s16, s0
	s_and_b64 s[10:11], s[0:1], s[14:15]
	s_mul_i32 s11, s11, 24
	s_mul_hi_u32 s14, s10, 24
	s_mul_i32 s10, s10, 24
	s_add_i32 s11, s14, s11
	s_waitcnt vmcnt(0)
	v_lshl_add_u64 v[2:3], v[8:9], 0, s[10:11]
	v_mov_b32_e32 v10, s0
	global_store_dwordx2 v[2:3], v[12:13], off
	v_mov_b32_e32 v11, s1
	buffer_wbl2 sc0 sc1
	s_waitcnt vmcnt(0)
	global_atomic_cmpswap_x2 v[10:11], v29, v[10:13], s[2:3] offset:24 sc0 sc1
	s_waitcnt vmcnt(0)
	v_cmp_ne_u64_e32 vcc, v[10:11], v[12:13]
	s_and_b64 exec, exec, vcc
	s_cbranch_execz .LBB6_491
; %bb.579:                              ;   in Loop: Header=BB6_492 Depth=1
	s_mov_b64 s[10:11], 0
.LBB6_580:                              ;   Parent Loop BB6_492 Depth=1
                                        ; =>  This Inner Loop Header: Depth=2
	s_sleep 1
	global_store_dwordx2 v[2:3], v[10:11], off
	v_mov_b32_e32 v8, s0
	v_mov_b32_e32 v9, s1
	buffer_wbl2 sc0 sc1
	s_waitcnt vmcnt(0)
	global_atomic_cmpswap_x2 v[8:9], v29, v[8:11], s[2:3] offset:24 sc0 sc1
	s_waitcnt vmcnt(0)
	v_cmp_eq_u64_e32 vcc, v[8:9], v[10:11]
	s_or_b64 s[10:11], vcc, s[10:11]
	v_mov_b64_e32 v[10:11], v[8:9]
	s_andn2_b64 exec, exec, s[10:11]
	s_cbranch_execnz .LBB6_580
	s_branch .LBB6_491
.LBB6_581:
	s_mov_b64 s[0:1], 0
	s_branch .LBB6_583
.LBB6_582:
	s_mov_b64 s[0:1], -1
.LBB6_583:
	s_and_b64 vcc, exec, s[0:1]
	s_cbranch_vccz .LBB6_610
; %bb.584:
	v_readfirstlane_b32 s0, v32
	s_waitcnt vmcnt(0)
	v_mov_b64_e32 v[8:9], 0
	v_cmp_eq_u32_e64 s[0:1], s0, v32
	s_and_saveexec_b64 s[4:5], s[0:1]
	s_cbranch_execz .LBB6_590
; %bb.585:
	v_mov_b32_e32 v2, 0
	global_load_dwordx2 v[6:7], v2, s[2:3] offset:24 sc0 sc1
	s_waitcnt vmcnt(0)
	buffer_inv sc0 sc1
	global_load_dwordx2 v[4:5], v2, s[2:3] offset:40
	global_load_dwordx2 v[8:9], v2, s[2:3]
	s_waitcnt vmcnt(1)
	v_and_b32_e32 v3, v4, v6
	v_and_b32_e32 v4, v5, v7
	v_mul_lo_u32 v4, v4, 24
	v_mul_hi_u32 v5, v3, 24
	v_add_u32_e32 v5, v5, v4
	v_mul_lo_u32 v4, v3, 24
	s_waitcnt vmcnt(0)
	v_lshl_add_u64 v[4:5], v[8:9], 0, v[4:5]
	global_load_dwordx2 v[4:5], v[4:5], off sc0 sc1
	s_waitcnt vmcnt(0)
	global_atomic_cmpswap_x2 v[8:9], v2, v[4:7], s[2:3] offset:24 sc0 sc1
	s_waitcnt vmcnt(0)
	buffer_inv sc0 sc1
	v_cmp_ne_u64_e32 vcc, v[8:9], v[6:7]
	s_and_saveexec_b64 s[6:7], vcc
	s_cbranch_execz .LBB6_589
; %bb.586:
	s_mov_b64 s[8:9], 0
.LBB6_587:                              ; =>This Inner Loop Header: Depth=1
	s_sleep 1
	global_load_dwordx2 v[4:5], v2, s[2:3] offset:40
	global_load_dwordx2 v[10:11], v2, s[2:3]
	v_mov_b64_e32 v[6:7], v[8:9]
	s_waitcnt vmcnt(1)
	v_and_b32_e32 v4, v4, v6
	v_and_b32_e32 v3, v5, v7
	s_waitcnt vmcnt(0)
	v_mad_u64_u32 v[4:5], s[10:11], v4, 24, v[10:11]
	v_mov_b32_e32 v8, v5
	v_mad_u64_u32 v[8:9], s[10:11], v3, 24, v[8:9]
	v_mov_b32_e32 v5, v8
	global_load_dwordx2 v[4:5], v[4:5], off sc0 sc1
	s_waitcnt vmcnt(0)
	global_atomic_cmpswap_x2 v[8:9], v2, v[4:7], s[2:3] offset:24 sc0 sc1
	s_waitcnt vmcnt(0)
	buffer_inv sc0 sc1
	v_cmp_eq_u64_e32 vcc, v[8:9], v[6:7]
	s_or_b64 s[8:9], vcc, s[8:9]
	s_andn2_b64 exec, exec, s[8:9]
	s_cbranch_execnz .LBB6_587
; %bb.588:
	s_or_b64 exec, exec, s[8:9]
.LBB6_589:
	s_or_b64 exec, exec, s[6:7]
.LBB6_590:
	s_or_b64 exec, exec, s[4:5]
	v_mov_b32_e32 v2, 0
	global_load_dwordx2 v[10:11], v2, s[2:3] offset:40
	global_load_dwordx4 v[4:7], v2, s[2:3]
	v_readfirstlane_b32 s5, v9
	v_readfirstlane_b32 s4, v8
	s_mov_b64 s[6:7], exec
	s_waitcnt vmcnt(1)
	v_readfirstlane_b32 s8, v10
	v_readfirstlane_b32 s9, v11
	s_and_b64 s[8:9], s[8:9], s[4:5]
	s_mul_i32 s10, s9, 24
	s_mul_hi_u32 s11, s8, 24
	s_add_i32 s11, s11, s10
	s_mul_i32 s10, s8, 24
	s_waitcnt vmcnt(0)
	v_lshl_add_u64 v[8:9], v[4:5], 0, s[10:11]
	s_and_saveexec_b64 s[10:11], s[0:1]
	s_cbranch_execz .LBB6_592
; %bb.591:
	v_mov_b64_e32 v[10:11], s[6:7]
	v_mov_b32_e32 v12, 2
	v_mov_b32_e32 v13, 1
	global_store_dwordx4 v[8:9], v[10:13], off offset:8
.LBB6_592:
	s_or_b64 exec, exec, s[10:11]
	s_lshl_b64 s[6:7], s[8:9], 12
	v_lshl_add_u64 v[6:7], v[6:7], 0, s[6:7]
	s_movk_i32 s6, 0xff1d
	s_mov_b32 s8, 0
	v_and_or_b32 v0, v0, s6, 34
	v_mov_b32_e32 v3, v2
	v_readfirstlane_b32 s6, v6
	v_readfirstlane_b32 s7, v7
	s_mov_b32 s9, s8
	s_mov_b32 s10, s8
	;; [unrolled: 1-line block ×3, first 2 shown]
	s_nop 1
	global_store_dwordx4 v26, v[0:3], s[6:7]
	s_nop 1
	v_mov_b64_e32 v[0:1], s[8:9]
	v_mov_b64_e32 v[2:3], s[10:11]
	global_store_dwordx4 v26, v[0:3], s[6:7] offset:16
	global_store_dwordx4 v26, v[0:3], s[6:7] offset:32
	;; [unrolled: 1-line block ×3, first 2 shown]
	s_and_saveexec_b64 s[6:7], s[0:1]
	s_cbranch_execz .LBB6_600
; %bb.593:
	v_mov_b32_e32 v6, 0
	global_load_dwordx2 v[12:13], v6, s[2:3] offset:32 sc0 sc1
	global_load_dwordx2 v[0:1], v6, s[2:3] offset:40
	v_mov_b32_e32 v10, s4
	v_mov_b32_e32 v11, s5
	s_waitcnt vmcnt(0)
	v_readfirstlane_b32 s8, v0
	v_readfirstlane_b32 s9, v1
	s_and_b64 s[8:9], s[8:9], s[4:5]
	s_mul_i32 s9, s9, 24
	s_mul_hi_u32 s10, s8, 24
	s_mul_i32 s8, s8, 24
	s_add_i32 s9, s10, s9
	v_lshl_add_u64 v[4:5], v[4:5], 0, s[8:9]
	global_store_dwordx2 v[4:5], v[12:13], off
	buffer_wbl2 sc0 sc1
	s_waitcnt vmcnt(0)
	global_atomic_cmpswap_x2 v[2:3], v6, v[10:13], s[2:3] offset:32 sc0 sc1
	s_waitcnt vmcnt(0)
	v_cmp_ne_u64_e32 vcc, v[2:3], v[12:13]
	s_and_saveexec_b64 s[8:9], vcc
	s_cbranch_execz .LBB6_596
; %bb.594:
	s_mov_b64 s[10:11], 0
.LBB6_595:                              ; =>This Inner Loop Header: Depth=1
	s_sleep 1
	global_store_dwordx2 v[4:5], v[2:3], off
	v_mov_b32_e32 v0, s4
	v_mov_b32_e32 v1, s5
	buffer_wbl2 sc0 sc1
	s_waitcnt vmcnt(0)
	global_atomic_cmpswap_x2 v[0:1], v6, v[0:3], s[2:3] offset:32 sc0 sc1
	s_waitcnt vmcnt(0)
	v_cmp_eq_u64_e32 vcc, v[0:1], v[2:3]
	s_or_b64 s[10:11], vcc, s[10:11]
	v_mov_b64_e32 v[2:3], v[0:1]
	s_andn2_b64 exec, exec, s[10:11]
	s_cbranch_execnz .LBB6_595
.LBB6_596:
	s_or_b64 exec, exec, s[8:9]
	v_mov_b32_e32 v3, 0
	global_load_dwordx2 v[0:1], v3, s[2:3] offset:16
	s_mov_b64 s[8:9], exec
	v_mbcnt_lo_u32_b32 v2, s8, 0
	v_mbcnt_hi_u32_b32 v2, s9, v2
	v_cmp_eq_u32_e32 vcc, 0, v2
	s_and_saveexec_b64 s[10:11], vcc
	s_cbranch_execz .LBB6_598
; %bb.597:
	s_bcnt1_i32_b64 s8, s[8:9]
	v_mov_b32_e32 v2, s8
	buffer_wbl2 sc0 sc1
	s_waitcnt vmcnt(0)
	global_atomic_add_x2 v[0:1], v[2:3], off offset:8 sc1
.LBB6_598:
	s_or_b64 exec, exec, s[10:11]
	s_waitcnt vmcnt(0)
	global_load_dwordx2 v[2:3], v[0:1], off offset:16
	s_waitcnt vmcnt(0)
	v_cmp_eq_u64_e32 vcc, 0, v[2:3]
	s_cbranch_vccnz .LBB6_600
; %bb.599:
	global_load_dword v0, v[0:1], off offset:24
	v_mov_b32_e32 v1, 0
	s_waitcnt vmcnt(0)
	v_readfirstlane_b32 s8, v0
	s_and_b32 m0, s8, 0xffffff
	buffer_wbl2 sc0 sc1
	global_store_dwordx2 v[2:3], v[0:1], off sc0 sc1
	s_sendmsg sendmsg(MSG_INTERRUPT)
.LBB6_600:
	s_or_b64 exec, exec, s[6:7]
	s_branch .LBB6_604
.LBB6_601:                              ;   in Loop: Header=BB6_604 Depth=1
	s_or_b64 exec, exec, s[6:7]
	v_readfirstlane_b32 s6, v0
	s_cmp_eq_u32 s6, 0
	s_cbranch_scc1 .LBB6_603
; %bb.602:                              ;   in Loop: Header=BB6_604 Depth=1
	s_sleep 1
	s_cbranch_execnz .LBB6_604
	s_branch .LBB6_606
.LBB6_603:
	s_branch .LBB6_606
.LBB6_604:                              ; =>This Inner Loop Header: Depth=1
	v_mov_b32_e32 v0, 1
	s_and_saveexec_b64 s[6:7], s[0:1]
	s_cbranch_execz .LBB6_601
; %bb.605:                              ;   in Loop: Header=BB6_604 Depth=1
	global_load_dword v0, v[8:9], off offset:20 sc0 sc1
	s_waitcnt vmcnt(0)
	buffer_inv sc0 sc1
	v_and_b32_e32 v0, 1, v0
	s_branch .LBB6_601
.LBB6_606:
	s_and_saveexec_b64 s[6:7], s[0:1]
	s_cbranch_execz .LBB6_609
; %bb.607:
	v_mov_b32_e32 v6, 0
	global_load_dwordx2 v[0:1], v6, s[2:3] offset:40
	global_load_dwordx2 v[10:11], v6, s[2:3] offset:24 sc0 sc1
	global_load_dwordx2 v[2:3], v6, s[2:3]
	s_waitcnt vmcnt(2)
	v_readfirstlane_b32 s8, v0
	v_readfirstlane_b32 s9, v1
	s_add_u32 s10, s8, 1
	s_addc_u32 s11, s9, 0
	s_add_u32 s0, s10, s4
	s_addc_u32 s1, s11, s5
	s_cmp_eq_u64 s[0:1], 0
	s_cselect_b32 s1, s11, s1
	s_cselect_b32 s0, s10, s0
	s_and_b64 s[4:5], s[0:1], s[8:9]
	s_mul_i32 s5, s5, 24
	s_mul_hi_u32 s8, s4, 24
	s_mul_i32 s4, s4, 24
	s_add_i32 s5, s8, s5
	s_waitcnt vmcnt(0)
	v_lshl_add_u64 v[4:5], v[2:3], 0, s[4:5]
	v_mov_b32_e32 v8, s0
	global_store_dwordx2 v[4:5], v[10:11], off
	v_mov_b32_e32 v9, s1
	buffer_wbl2 sc0 sc1
	s_waitcnt vmcnt(0)
	global_atomic_cmpswap_x2 v[2:3], v6, v[8:11], s[2:3] offset:24 sc0 sc1
	s_mov_b64 s[4:5], 0
	s_waitcnt vmcnt(0)
	v_cmp_ne_u64_e32 vcc, v[2:3], v[10:11]
	s_and_b64 exec, exec, vcc
	s_cbranch_execz .LBB6_609
.LBB6_608:                              ; =>This Inner Loop Header: Depth=1
	s_sleep 1
	global_store_dwordx2 v[4:5], v[2:3], off
	v_mov_b32_e32 v0, s0
	v_mov_b32_e32 v1, s1
	buffer_wbl2 sc0 sc1
	s_waitcnt vmcnt(0)
	global_atomic_cmpswap_x2 v[0:1], v6, v[0:3], s[2:3] offset:24 sc0 sc1
	s_waitcnt vmcnt(0)
	v_cmp_eq_u64_e32 vcc, v[0:1], v[2:3]
	s_or_b64 s[4:5], vcc, s[4:5]
	v_mov_b64_e32 v[2:3], v[0:1]
	s_andn2_b64 exec, exec, s[4:5]
	s_cbranch_execnz .LBB6_608
.LBB6_609:
	s_or_b64 exec, exec, s[6:7]
.LBB6_610:
	s_getpc_b64 s[0:1]
	s_add_u32 s0, s0, .str.29@rel32@lo+4
	s_addc_u32 s1, s1, .str.29@rel32@hi+12
	s_getpc_b64 s[2:3]
	s_add_u32 s2, s2, .str.19@rel32@lo+4
	s_addc_u32 s3, s3, .str.19@rel32@hi+12
	s_getpc_b64 s[4:5]
	s_add_u32 s4, s4, __PRETTY_FUNCTION__._ZN7VecsMemIjLi8192EE5fetchEi@rel32@lo+4
	s_addc_u32 s5, s5, __PRETTY_FUNCTION__._ZN7VecsMemIjLi8192EE5fetchEi@rel32@hi+12
	s_getpc_b64 s[6:7]
	s_add_u32 s6, s6, __assert_fail@rel32@lo+4
	s_addc_u32 s7, s7, __assert_fail@rel32@hi+12
	s_mov_b64 s[8:9], s[64:65]
	s_waitcnt vmcnt(0)
	v_mov_b32_e32 v0, s0
	v_mov_b32_e32 v1, s1
	;; [unrolled: 1-line block ×7, first 2 shown]
	s_swappc_b64 s[30:31], s[6:7]
	s_or_b64 s[0:1], s[26:27], exec
.LBB6_611:
	s_or_b64 exec, exec, s[22:23]
	s_andn2_b64 s[2:3], s[26:27], exec
	s_and_b64 s[0:1], s[0:1], exec
	s_or_b64 s[22:23], s[2:3], s[0:1]
	s_orn2_b64 s[0:1], s[46:47], exec
.LBB6_612:
	s_or_b64 exec, exec, s[44:45]
	s_mov_b64 s[2:3], 0
                                        ; implicit-def: $vgpr41
	s_and_saveexec_b64 s[78:79], s[0:1]
	s_cbranch_execz .LBB6_1914
; %bb.613:
	v_mov_b32_e32 v1, 0
	s_mov_b32 s11, 0
	s_mov_b64 s[8:9], 0
	v_mov_b32_e32 v80, v1
	s_mov_b32 s12, s11
	v_mov_b32_e32 v6, 0
	scratch_store_dwordx2 off, v[70:71], s33 offset:112
                                        ; implicit-def: $sgpr6_sgpr7
	s_branch .LBB6_615
.LBB6_614:                              ;   in Loop: Header=BB6_615 Depth=1
	s_or_b64 exec, exec, s[14:15]
	s_xor_b64 s[0:1], s[4:5], -1
	s_and_b64 s[2:3], exec, s[2:3]
	s_or_b64 s[8:9], s[2:3], s[8:9]
	s_andn2_b64 s[2:3], s[6:7], exec
	s_and_b64 s[0:1], s[0:1], exec
	s_or_b64 s[6:7], s[2:3], s[0:1]
	s_andn2_b64 exec, exec, s[8:9]
	s_cbranch_execz .LBB6_655
.LBB6_615:                              ; =>This Loop Header: Depth=1
                                        ;     Child Loop BB6_618 Depth 2
                                        ;     Child Loop BB6_623 Depth 2
                                        ;       Child Loop BB6_627 Depth 3
                                        ;     Child Loop BB6_636 Depth 2
                                        ;       Child Loop BB6_640 Depth 3
	s_mov_b32 s13, s11
	v_lshl_add_u64 v[2:3], s[12:13], 2, v[64:65]
	flat_load_dword v0, v[2:3]
	s_mov_b64 s[0:1], -1
	s_waitcnt vmcnt(0) lgkmcnt(0)
	v_cmp_lt_i32_e32 vcc, -1, v0
	s_and_saveexec_b64 s[14:15], vcc
	s_cbranch_execz .LBB6_653
; %bb.616:                              ;   in Loop: Header=BB6_615 Depth=1
	s_mov_b32 s10, 0
	s_mov_b64 s[0:1], 0
	v_mov_b64_e32 v[4:5], v[66:67]
                                        ; implicit-def: $sgpr2_sgpr3
	s_branch .LBB6_618
.LBB6_617:                              ;   in Loop: Header=BB6_618 Depth=2
	s_or_b64 exec, exec, s[4:5]
	s_and_b64 s[4:5], exec, s[2:3]
	s_or_b64 s[0:1], s[4:5], s[0:1]
	s_andn2_b64 exec, exec, s[0:1]
	s_cbranch_execz .LBB6_620
.LBB6_618:                              ;   Parent Loop BB6_615 Depth=1
                                        ; =>  This Inner Loop Header: Depth=2
	flat_load_dword v8, v[4:5]
	v_mov_b32_e32 v7, s10
	s_or_b64 s[2:3], s[2:3], exec
	s_waitcnt vmcnt(0) lgkmcnt(0)
	v_and_b32_e32 v9, v8, v0
	v_cmp_ne_u32_e32 vcc, v9, v8
	s_and_saveexec_b64 s[4:5], vcc
	s_cbranch_execz .LBB6_617
; %bb.619:                              ;   in Loop: Header=BB6_618 Depth=2
	s_add_i32 s10, s10, 1
	v_cmp_eq_u32_e32 vcc, s10, v68
	s_andn2_b64 s[2:3], s[2:3], exec
	s_and_b64 s[16:17], vcc, exec
	v_lshl_add_u64 v[4:5], v[4:5], 0, 4
	s_or_b64 s[2:3], s[2:3], s[16:17]
	v_mov_b32_e32 v7, v68
	s_branch .LBB6_617
.LBB6_620:                              ;   in Loop: Header=BB6_615 Depth=1
	s_or_b64 exec, exec, s[0:1]
	v_cmp_ne_u32_e32 vcc, v7, v68
	s_mov_b64 s[0:1], -1
	s_and_saveexec_b64 s[16:17], vcc
	s_cbranch_execz .LBB6_652
; %bb.621:                              ;   in Loop: Header=BB6_615 Depth=1
	v_bitop3_b32 v8, v0, v8, v0 bitop3:0x30
	s_mov_b32 s10, 0
	v_cmp_lt_i32_e32 vcc, 0, v56
	s_mov_b64 s[18:19], 0
	s_branch .LBB6_623
.LBB6_622:                              ;   in Loop: Header=BB6_623 Depth=2
	s_or_b64 exec, exec, s[4:5]
	s_and_b64 s[0:1], exec, s[20:21]
	s_or_b64 s[18:19], s[0:1], s[18:19]
	s_andn2_b64 exec, exec, s[18:19]
	s_cbranch_execz .LBB6_633
.LBB6_623:                              ;   Parent Loop BB6_615 Depth=1
                                        ; =>  This Loop Header: Depth=2
                                        ;       Child Loop BB6_627 Depth 3
	v_cmp_ne_u32_e64 s[0:1], s10, v7
	s_mov_b64 s[20:21], -1
	s_mov_b64 s[2:3], -1
	s_and_saveexec_b64 s[44:45], s[0:1]
	s_cbranch_execz .LBB6_631
; %bb.624:                              ;   in Loop: Header=BB6_623 Depth=2
	v_mov_b32_e32 v11, 0
	s_and_saveexec_b64 s[46:47], vcc
	s_cbranch_execz .LBB6_630
; %bb.625:                              ;   in Loop: Header=BB6_623 Depth=2
	v_lshl_add_u64 v[4:5], s[10:11], 2, v[66:67]
	flat_load_dword v9, v[4:5]
	s_mov_b32 s13, 0
	s_mov_b64 s[88:89], 0
	v_mov_b64_e32 v[4:5], v[64:65]
                                        ; implicit-def: $sgpr90_sgpr91
	s_waitcnt vmcnt(0) lgkmcnt(0)
	v_not_b32_e32 v10, v9
	s_branch .LBB6_627
.LBB6_626:                              ;   in Loop: Header=BB6_627 Depth=3
	s_or_b64 exec, exec, s[2:3]
	s_and_b64 s[0:1], exec, s[90:91]
	s_or_b64 s[88:89], s[0:1], s[88:89]
	s_andn2_b64 exec, exec, s[88:89]
	s_cbranch_execz .LBB6_629
.LBB6_627:                              ;   Parent Loop BB6_615 Depth=1
                                        ;     Parent Loop BB6_623 Depth=2
                                        ; =>    This Inner Loop Header: Depth=3
	flat_load_dword v6, v[4:5]
	v_mov_b32_e32 v11, s13
	s_or_b64 s[90:91], s[90:91], exec
	s_waitcnt vmcnt(0) lgkmcnt(0)
	v_and_b32_e32 v12, v6, v9
	v_and_b32_e32 v13, v6, v10
	v_cmp_ne_u32_e64 s[2:3], v12, v9
	v_cmp_ne_u32_e64 s[4:5], v8, v13
	v_cmp_gt_i32_e64 s[0:1], 0, v6
	s_or_b64 s[2:3], s[2:3], s[4:5]
	s_or_b64 s[0:1], s[2:3], s[0:1]
	s_and_saveexec_b64 s[2:3], s[0:1]
	s_cbranch_execz .LBB6_626
; %bb.628:                              ;   in Loop: Header=BB6_627 Depth=3
	s_add_i32 s13, s13, 1
	v_cmp_eq_u32_e64 s[0:1], s13, v56
	s_andn2_b64 s[4:5], s[90:91], exec
	s_and_b64 s[0:1], s[0:1], exec
	v_lshl_add_u64 v[4:5], v[4:5], 0, 4
	s_or_b64 s[90:91], s[4:5], s[0:1]
	v_mov_b32_e32 v11, v56
	s_branch .LBB6_626
.LBB6_629:                              ;   in Loop: Header=BB6_623 Depth=2
	s_or_b64 exec, exec, s[88:89]
.LBB6_630:                              ;   in Loop: Header=BB6_623 Depth=2
	s_or_b64 exec, exec, s[46:47]
	v_cmp_ne_u32_e64 s[0:1], v11, v56
	s_orn2_b64 s[2:3], s[0:1], exec
.LBB6_631:                              ;   in Loop: Header=BB6_623 Depth=2
	s_or_b64 exec, exec, s[44:45]
	v_mov_b32_e32 v4, s10
	s_and_saveexec_b64 s[4:5], s[2:3]
	s_cbranch_execz .LBB6_622
; %bb.632:                              ;   in Loop: Header=BB6_623 Depth=2
	s_add_i32 s10, s10, 1
	v_cmp_eq_u32_e64 s[0:1], s10, v68
	s_orn2_b64 s[20:21], s[0:1], exec
	v_mov_b32_e32 v4, v68
	s_branch .LBB6_622
.LBB6_633:                              ;   in Loop: Header=BB6_615 Depth=1
	s_or_b64 exec, exec, s[18:19]
	v_cmp_eq_u32_e32 vcc, v4, v68
	s_mov_b64 s[0:1], -1
	s_and_saveexec_b64 s[4:5], vcc
	s_cbranch_execz .LBB6_651
; %bb.634:                              ;   in Loop: Header=BB6_615 Depth=1
	v_ashrrev_i32_e32 v81, 31, v80
	v_add_u32_e32 v9, 1, v80
	v_lshl_add_u64 v[4:5], v[80:81], 2, v[70:71]
	v_or_b32_e32 v0, 0x80000000, v0
	s_mov_b32 s10, 0
	s_mov_b64 s[20:21], 0
	scratch_store_dword off, v9, s33 offset:108
	flat_store_dword v[4:5], v8
	flat_store_dword v[2:3], v0
                                        ; implicit-def: $sgpr18_sgpr19
	s_branch .LBB6_636
.LBB6_635:                              ;   in Loop: Header=BB6_636 Depth=2
	s_or_b64 exec, exec, s[46:47]
	s_xor_b64 s[0:1], s[2:3], -1
	s_and_b64 s[2:3], exec, s[44:45]
	s_or_b64 s[20:21], s[2:3], s[20:21]
	s_andn2_b64 s[2:3], s[18:19], exec
	s_and_b64 s[0:1], s[0:1], exec
	s_or_b64 s[18:19], s[2:3], s[0:1]
	s_andn2_b64 exec, exec, s[20:21]
	s_cbranch_execz .LBB6_648
.LBB6_636:                              ;   Parent Loop BB6_615 Depth=1
                                        ; =>  This Loop Header: Depth=2
                                        ;       Child Loop BB6_640 Depth 3
	v_cmp_ne_u32_e32 vcc, s10, v7
	s_mov_b64 s[44:45], -1
	s_mov_b64 s[0:1], -1
	s_and_saveexec_b64 s[46:47], vcc
	s_cbranch_execz .LBB6_646
; %bb.637:                              ;   in Loop: Header=BB6_636 Depth=2
	flat_load_dword v0, v[54:55] offset:4
	v_mov_b64_e32 v[2:3], 0
	s_mov_b64 s[0:1], 0
	s_waitcnt vmcnt(0) lgkmcnt(0)
	v_cmp_lt_i32_e32 vcc, 0, v0
	s_and_saveexec_b64 s[88:89], vcc
	s_cbranch_execz .LBB6_643
; %bb.638:                              ;   in Loop: Header=BB6_636 Depth=2
	v_lshl_add_u64 v[2:3], s[10:11], 2, v[66:67]
	flat_load_dword v10, v[2:3]
	s_mov_b64 s[90:91], 0
	v_mov_b64_e32 v[4:5], v[64:65]
	s_mov_b64 s[34:35], 0
                                        ; implicit-def: $sgpr92_sgpr93
                                        ; implicit-def: $sgpr30_sgpr31
                                        ; implicit-def: $sgpr94_sgpr95
	s_waitcnt vmcnt(0) lgkmcnt(0)
	v_not_b32_e32 v11, v10
	s_branch .LBB6_640
.LBB6_639:                              ;   in Loop: Header=BB6_640 Depth=3
	s_or_b64 exec, exec, s[0:1]
	s_and_b64 s[0:1], exec, s[30:31]
	s_or_b64 s[90:91], s[0:1], s[90:91]
	s_andn2_b64 s[0:1], s[92:93], exec
	s_and_b64 s[2:3], s[94:95], exec
	s_or_b64 s[92:93], s[0:1], s[2:3]
	s_andn2_b64 exec, exec, s[90:91]
	s_cbranch_execz .LBB6_642
.LBB6_640:                              ;   Parent Loop BB6_615 Depth=1
                                        ;     Parent Loop BB6_636 Depth=2
                                        ; =>    This Inner Loop Header: Depth=3
	flat_load_dword v6, v[4:5]
	v_mov_b64_e32 v[2:3], s[34:35]
	s_or_b64 s[94:95], s[94:95], exec
	s_or_b64 s[30:31], s[30:31], exec
	s_waitcnt vmcnt(0) lgkmcnt(0)
	v_and_b32_e32 v12, v6, v10
	v_and_b32_e32 v13, v6, v11
	v_cmp_ne_u32_e64 s[0:1], v12, v10
	v_cmp_ne_u32_e64 s[2:3], v8, v13
	v_cmp_gt_i32_e32 vcc, 0, v6
	s_or_b64 s[0:1], s[0:1], s[2:3]
	s_or_b64 s[2:3], s[0:1], vcc
	s_and_saveexec_b64 s[0:1], s[2:3]
	s_cbranch_execz .LBB6_639
; %bb.641:                              ;   in Loop: Header=BB6_640 Depth=3
	s_add_u32 s34, s34, 1
	v_cmp_eq_u32_e32 vcc, s34, v0
	s_addc_u32 s35, s35, 0
	s_andn2_b64 s[2:3], s[30:31], exec
	s_and_b64 vcc, vcc, exec
	v_lshl_add_u64 v[4:5], v[4:5], 0, 4
	s_andn2_b64 s[94:95], s[94:95], exec
	s_or_b64 s[30:31], s[2:3], vcc
	v_mov_b64_e32 v[2:3], v[0:1]
	s_branch .LBB6_639
.LBB6_642:                              ;   in Loop: Header=BB6_636 Depth=2
	s_or_b64 exec, exec, s[90:91]
	s_and_b64 s[0:1], s[92:93], exec
.LBB6_643:                              ;   in Loop: Header=BB6_636 Depth=2
	s_or_b64 exec, exec, s[88:89]
	s_mov_b64 s[2:3], 0
	s_and_saveexec_b64 s[88:89], s[0:1]
	s_cbranch_execz .LBB6_645
; %bb.644:                              ;   in Loop: Header=BB6_636 Depth=2
	s_mov_b64 s[2:3], exec
	v_or_b32_e32 v0, 0x80000000, v6
	v_lshl_add_u64 v[2:3], v[2:3], 2, v[64:65]
	flat_store_dword v[2:3], v0
.LBB6_645:                              ;   in Loop: Header=BB6_636 Depth=2
	s_or_b64 exec, exec, s[88:89]
	s_orn2_b64 s[0:1], s[2:3], exec
.LBB6_646:                              ;   in Loop: Header=BB6_636 Depth=2
	s_or_b64 exec, exec, s[46:47]
	s_mov_b64 s[2:3], -1
	s_and_saveexec_b64 s[46:47], s[0:1]
	s_cbranch_execz .LBB6_635
; %bb.647:                              ;   in Loop: Header=BB6_636 Depth=2
	s_add_i32 s10, s10, 1
	v_cmp_eq_u32_e32 vcc, s10, v68
	s_xor_b64 s[2:3], exec, -1
	s_orn2_b64 s[44:45], vcc, exec
	s_branch .LBB6_635
.LBB6_648:                              ;   in Loop: Header=BB6_615 Depth=1
	s_or_b64 exec, exec, s[20:21]
	s_mov_b64 s[0:1], 0
                                        ; implicit-def: $vgpr56
	s_and_saveexec_b64 s[2:3], s[18:19]
	s_xor_b64 s[2:3], exec, s[2:3]
	s_cbranch_execz .LBB6_650
; %bb.649:                              ;   in Loop: Header=BB6_615 Depth=1
	flat_load_dword v56, v[54:55] offset:4
	s_mov_b64 s[0:1], exec
.LBB6_650:                              ;   in Loop: Header=BB6_615 Depth=1
	s_or_b64 exec, exec, s[2:3]
	s_orn2_b64 s[0:1], s[0:1], exec
	v_mov_b32_e32 v80, v9
.LBB6_651:                              ;   in Loop: Header=BB6_615 Depth=1
	s_or_b64 exec, exec, s[4:5]
	s_orn2_b64 s[0:1], s[0:1], exec
.LBB6_652:                              ;   in Loop: Header=BB6_615 Depth=1
	s_or_b64 exec, exec, s[16:17]
	s_orn2_b64 s[0:1], s[0:1], exec
.LBB6_653:                              ;   in Loop: Header=BB6_615 Depth=1
	s_or_b64 exec, exec, s[14:15]
	s_mov_b64 s[2:3], -1
	s_mov_b64 s[4:5], -1
	s_and_saveexec_b64 s[14:15], s[0:1]
	s_cbranch_execz .LBB6_614
; %bb.654:                              ;   in Loop: Header=BB6_615 Depth=1
	s_add_i32 s12, s12, 1
	s_waitcnt vmcnt(0) lgkmcnt(0)
	v_cmp_ge_i32_e32 vcc, s12, v56
	s_xor_b64 s[4:5], exec, -1
	s_orn2_b64 s[2:3], vcc, exec
	s_branch .LBB6_614
.LBB6_655:
	s_or_b64 exec, exec, s[8:9]
	s_mov_b64 s[44:45], 0
	s_mov_b64 s[46:47], s[22:23]
                                        ; implicit-def: $vgpr41
	s_and_saveexec_b64 s[0:1], s[6:7]
	s_xor_b64 s[88:89], exec, s[0:1]
	s_cbranch_execz .LBB6_1911
; %bb.656:
	v_mul_lo_u32 v53, v80, v68
	s_waitcnt vmcnt(0) lgkmcnt(0)
	v_sub_u32_e32 v66, v56, v53
	v_mov_b32_e32 v0, 0
	v_cmp_lt_i32_e32 vcc, 0, v66
	s_mov_b64 s[0:1], -1
	v_mov_b64_e32 v[68:69], 0
	s_mov_b64 s[44:45], s[22:23]
	scratch_store_dword off, v0, s33 offset:140
	s_and_saveexec_b64 s[46:47], vcc
	s_cbranch_execz .LBB6_808
; %bb.657:
	flat_load_dword v0, v[58:59]
	s_movk_i32 s0, 0x2001
	s_mov_b64 s[90:91], 0
	v_mov_b64_e32 v[68:69], 0
	s_waitcnt vmcnt(0) lgkmcnt(0)
	v_add_u32_e32 v0, v0, v66
	v_cmp_gt_i32_e32 vcc, s0, v0
	s_and_saveexec_b64 s[0:1], vcc
	s_xor_b64 s[0:1], exec, s[0:1]
	s_cbranch_execz .LBB6_659
; %bb.658:
	v_ashrrev_i32_e32 v1, 31, v0
	v_mov_b32_e32 v67, 0
	flat_store_dword v[58:59], v0
	v_lshl_add_u64 v[0:1], v[0:1], 2, v[58:59]
	v_lshlrev_b64 v[2:3], 2, v[66:67]
	v_sub_co_u32_e32 v0, vcc, v0, v2
	s_mov_b64 s[90:91], exec
	s_nop 0
	v_subb_co_u32_e32 v1, vcc, v1, v3, vcc
	v_lshl_add_u64 v[68:69], v[0:1], 0, 4
.LBB6_659:
	s_or_saveexec_b64 s[44:45], s[0:1]
	s_mov_b64 s[0:1], s[22:23]
	s_xor_b64 exec, exec, s[44:45]
	s_cbranch_execz .LBB6_807
; %bb.660:
	s_load_dwordx2 s[2:3], s[64:65], 0x50
	v_mbcnt_lo_u32_b32 v0, -1, 0
	v_mbcnt_hi_u32_b32 v32, -1, v0
	v_mov_b64_e32 v[4:5], 0
	v_readfirstlane_b32 s0, v32
	s_nop 1
	v_cmp_eq_u32_e64 s[0:1], s0, v32
	s_and_saveexec_b64 s[4:5], s[0:1]
	s_cbranch_execz .LBB6_666
; %bb.661:
	v_mov_b32_e32 v0, 0
	s_waitcnt lgkmcnt(0)
	global_load_dwordx2 v[6:7], v0, s[2:3] offset:24 sc0 sc1
	s_waitcnt vmcnt(0)
	buffer_inv sc0 sc1
	global_load_dwordx2 v[2:3], v0, s[2:3] offset:40
	global_load_dwordx2 v[4:5], v0, s[2:3]
	s_waitcnt vmcnt(1)
	v_and_b32_e32 v1, v2, v6
	v_and_b32_e32 v2, v3, v7
	v_mul_lo_u32 v2, v2, 24
	v_mul_hi_u32 v3, v1, 24
	v_add_u32_e32 v3, v3, v2
	v_mul_lo_u32 v2, v1, 24
	s_waitcnt vmcnt(0)
	v_lshl_add_u64 v[2:3], v[4:5], 0, v[2:3]
	global_load_dwordx2 v[4:5], v[2:3], off sc0 sc1
	s_waitcnt vmcnt(0)
	global_atomic_cmpswap_x2 v[4:5], v0, v[4:7], s[2:3] offset:24 sc0 sc1
	s_waitcnt vmcnt(0)
	buffer_inv sc0 sc1
	v_cmp_ne_u64_e32 vcc, v[4:5], v[6:7]
	s_and_saveexec_b64 s[6:7], vcc
	s_cbranch_execz .LBB6_665
; %bb.662:
	s_mov_b64 s[8:9], 0
.LBB6_663:                              ; =>This Inner Loop Header: Depth=1
	s_sleep 1
	global_load_dwordx2 v[2:3], v0, s[2:3] offset:40
	global_load_dwordx2 v[8:9], v0, s[2:3]
	v_mov_b64_e32 v[6:7], v[4:5]
	s_waitcnt vmcnt(1)
	v_and_b32_e32 v2, v2, v6
	v_and_b32_e32 v1, v3, v7
	s_waitcnt vmcnt(0)
	v_mad_u64_u32 v[2:3], s[10:11], v2, 24, v[8:9]
	v_mov_b32_e32 v4, v3
	v_mad_u64_u32 v[4:5], s[10:11], v1, 24, v[4:5]
	v_mov_b32_e32 v3, v4
	global_load_dwordx2 v[4:5], v[2:3], off sc0 sc1
	s_waitcnt vmcnt(0)
	global_atomic_cmpswap_x2 v[4:5], v0, v[4:7], s[2:3] offset:24 sc0 sc1
	s_waitcnt vmcnt(0)
	buffer_inv sc0 sc1
	v_cmp_eq_u64_e32 vcc, v[4:5], v[6:7]
	s_or_b64 s[8:9], vcc, s[8:9]
	s_andn2_b64 exec, exec, s[8:9]
	s_cbranch_execnz .LBB6_663
; %bb.664:
	s_or_b64 exec, exec, s[8:9]
.LBB6_665:
	s_or_b64 exec, exec, s[6:7]
.LBB6_666:
	s_or_b64 exec, exec, s[4:5]
	v_mov_b32_e32 v27, 0
	s_waitcnt lgkmcnt(0)
	global_load_dwordx2 v[6:7], v27, s[2:3] offset:40
	global_load_dwordx4 v[0:3], v27, s[2:3]
	v_readfirstlane_b32 s5, v5
	v_readfirstlane_b32 s4, v4
	s_mov_b64 s[6:7], exec
	s_waitcnt vmcnt(0)
	v_readfirstlane_b32 s8, v6
	v_readfirstlane_b32 s9, v7
	s_and_b64 s[8:9], s[8:9], s[4:5]
	s_mul_i32 s10, s9, 24
	s_mul_hi_u32 s11, s8, 24
	s_add_i32 s11, s11, s10
	s_mul_i32 s10, s8, 24
	v_lshl_add_u64 v[4:5], v[0:1], 0, s[10:11]
	s_and_saveexec_b64 s[10:11], s[0:1]
	s_cbranch_execz .LBB6_668
; %bb.667:
	v_mov_b64_e32 v[6:7], s[6:7]
	v_mov_b32_e32 v8, 2
	v_mov_b32_e32 v9, 1
	global_store_dwordx4 v[4:5], v[6:9], off offset:8
.LBB6_668:
	s_or_b64 exec, exec, s[10:11]
	s_lshl_b64 s[6:7], s[8:9], 12
	v_lshl_add_u64 v[6:7], v[2:3], 0, s[6:7]
	s_mov_b32 s8, 0
	v_lshlrev_b32_e32 v26, 6, v32
	v_mov_b32_e32 v8, 33
	v_mov_b32_e32 v9, v27
	;; [unrolled: 1-line block ×4, first 2 shown]
	v_readfirstlane_b32 s6, v6
	v_readfirstlane_b32 s7, v7
	s_mov_b32 s9, s8
	s_mov_b32 s10, s8
	;; [unrolled: 1-line block ×3, first 2 shown]
	s_nop 1
	global_store_dwordx4 v26, v[8:11], s[6:7]
	s_nop 1
	v_mov_b64_e32 v[8:9], s[8:9]
	v_mov_b64_e32 v[10:11], s[10:11]
	global_store_dwordx4 v26, v[8:11], s[6:7] offset:16
	global_store_dwordx4 v26, v[8:11], s[6:7] offset:32
	;; [unrolled: 1-line block ×3, first 2 shown]
	s_and_saveexec_b64 s[6:7], s[0:1]
	s_cbranch_execz .LBB6_676
; %bb.669:
	v_mov_b32_e32 v10, 0
	global_load_dwordx2 v[14:15], v10, s[2:3] offset:32 sc0 sc1
	global_load_dwordx2 v[2:3], v10, s[2:3] offset:40
	v_mov_b32_e32 v12, s4
	v_mov_b32_e32 v13, s5
	s_waitcnt vmcnt(0)
	v_and_b32_e32 v2, s4, v2
	v_and_b32_e32 v3, s5, v3
	v_mul_lo_u32 v3, v3, 24
	v_mul_hi_u32 v8, v2, 24
	v_mul_lo_u32 v2, v2, 24
	v_add_u32_e32 v3, v8, v3
	v_lshl_add_u64 v[8:9], v[0:1], 0, v[2:3]
	global_store_dwordx2 v[8:9], v[14:15], off
	buffer_wbl2 sc0 sc1
	s_waitcnt vmcnt(0)
	global_atomic_cmpswap_x2 v[2:3], v10, v[12:15], s[2:3] offset:32 sc0 sc1
	s_waitcnt vmcnt(0)
	v_cmp_ne_u64_e32 vcc, v[2:3], v[14:15]
	s_and_saveexec_b64 s[8:9], vcc
	s_cbranch_execz .LBB6_672
; %bb.670:
	s_mov_b64 s[10:11], 0
.LBB6_671:                              ; =>This Inner Loop Header: Depth=1
	s_sleep 1
	global_store_dwordx2 v[8:9], v[2:3], off
	v_mov_b32_e32 v0, s4
	v_mov_b32_e32 v1, s5
	buffer_wbl2 sc0 sc1
	s_waitcnt vmcnt(0)
	global_atomic_cmpswap_x2 v[0:1], v10, v[0:3], s[2:3] offset:32 sc0 sc1
	s_waitcnt vmcnt(0)
	v_cmp_eq_u64_e32 vcc, v[0:1], v[2:3]
	s_or_b64 s[10:11], vcc, s[10:11]
	v_mov_b64_e32 v[2:3], v[0:1]
	s_andn2_b64 exec, exec, s[10:11]
	s_cbranch_execnz .LBB6_671
.LBB6_672:
	s_or_b64 exec, exec, s[8:9]
	v_mov_b32_e32 v3, 0
	global_load_dwordx2 v[0:1], v3, s[2:3] offset:16
	s_mov_b64 s[8:9], exec
	v_mbcnt_lo_u32_b32 v2, s8, 0
	v_mbcnt_hi_u32_b32 v2, s9, v2
	v_cmp_eq_u32_e32 vcc, 0, v2
	s_and_saveexec_b64 s[10:11], vcc
	s_cbranch_execz .LBB6_674
; %bb.673:
	s_bcnt1_i32_b64 s8, s[8:9]
	v_mov_b32_e32 v2, s8
	buffer_wbl2 sc0 sc1
	s_waitcnt vmcnt(0)
	global_atomic_add_x2 v[0:1], v[2:3], off offset:8 sc1
.LBB6_674:
	s_or_b64 exec, exec, s[10:11]
	s_waitcnt vmcnt(0)
	global_load_dwordx2 v[2:3], v[0:1], off offset:16
	s_waitcnt vmcnt(0)
	v_cmp_eq_u64_e32 vcc, 0, v[2:3]
	s_cbranch_vccnz .LBB6_676
; %bb.675:
	global_load_dword v0, v[0:1], off offset:24
	v_mov_b32_e32 v1, 0
	s_waitcnt vmcnt(0)
	v_readfirstlane_b32 s8, v0
	s_and_b32 m0, s8, 0xffffff
	buffer_wbl2 sc0 sc1
	global_store_dwordx2 v[2:3], v[0:1], off sc0 sc1
	s_sendmsg sendmsg(MSG_INTERRUPT)
.LBB6_676:
	s_or_b64 exec, exec, s[6:7]
	v_lshl_add_u64 v[0:1], v[6:7], 0, v[26:27]
	s_branch .LBB6_680
.LBB6_677:                              ;   in Loop: Header=BB6_680 Depth=1
	s_or_b64 exec, exec, s[6:7]
	v_readfirstlane_b32 s6, v2
	s_cmp_eq_u32 s6, 0
	s_cbranch_scc1 .LBB6_679
; %bb.678:                              ;   in Loop: Header=BB6_680 Depth=1
	s_sleep 1
	s_cbranch_execnz .LBB6_680
	s_branch .LBB6_682
.LBB6_679:
	s_branch .LBB6_682
.LBB6_680:                              ; =>This Inner Loop Header: Depth=1
	v_mov_b32_e32 v2, 1
	s_and_saveexec_b64 s[6:7], s[0:1]
	s_cbranch_execz .LBB6_677
; %bb.681:                              ;   in Loop: Header=BB6_680 Depth=1
	global_load_dword v2, v[4:5], off offset:20 sc0 sc1
	s_waitcnt vmcnt(0)
	buffer_inv sc0 sc1
	v_and_b32_e32 v2, 1, v2
	s_branch .LBB6_677
.LBB6_682:
	global_load_dwordx2 v[0:1], v[0:1], off
	s_and_saveexec_b64 s[6:7], s[0:1]
	s_cbranch_execz .LBB6_685
; %bb.683:
	v_mov_b32_e32 v8, 0
	global_load_dwordx2 v[2:3], v8, s[2:3] offset:40
	global_load_dwordx2 v[12:13], v8, s[2:3] offset:24 sc0 sc1
	global_load_dwordx2 v[4:5], v8, s[2:3]
	s_waitcnt vmcnt(2)
	v_readfirstlane_b32 s8, v2
	v_readfirstlane_b32 s9, v3
	s_add_u32 s10, s8, 1
	s_addc_u32 s11, s9, 0
	s_add_u32 s0, s10, s4
	s_addc_u32 s1, s11, s5
	s_cmp_eq_u64 s[0:1], 0
	s_cselect_b32 s1, s11, s1
	s_cselect_b32 s0, s10, s0
	s_and_b64 s[4:5], s[0:1], s[8:9]
	s_mul_i32 s5, s5, 24
	s_mul_hi_u32 s8, s4, 24
	s_mul_i32 s4, s4, 24
	s_add_i32 s5, s8, s5
	s_waitcnt vmcnt(0)
	v_lshl_add_u64 v[6:7], v[4:5], 0, s[4:5]
	v_mov_b32_e32 v10, s0
	global_store_dwordx2 v[6:7], v[12:13], off
	v_mov_b32_e32 v11, s1
	buffer_wbl2 sc0 sc1
	s_waitcnt vmcnt(0)
	global_atomic_cmpswap_x2 v[4:5], v8, v[10:13], s[2:3] offset:24 sc0 sc1
	s_mov_b64 s[4:5], 0
	s_waitcnt vmcnt(0)
	v_cmp_ne_u64_e32 vcc, v[4:5], v[12:13]
	s_and_b64 exec, exec, vcc
	s_cbranch_execz .LBB6_685
.LBB6_684:                              ; =>This Inner Loop Header: Depth=1
	s_sleep 1
	global_store_dwordx2 v[6:7], v[4:5], off
	v_mov_b32_e32 v2, s0
	v_mov_b32_e32 v3, s1
	buffer_wbl2 sc0 sc1
	s_waitcnt vmcnt(0)
	global_atomic_cmpswap_x2 v[2:3], v8, v[2:5], s[2:3] offset:24 sc0 sc1
	s_waitcnt vmcnt(0)
	v_cmp_eq_u64_e32 vcc, v[2:3], v[4:5]
	s_or_b64 s[4:5], vcc, s[4:5]
	v_mov_b64_e32 v[4:5], v[2:3]
	s_andn2_b64 exec, exec, s[4:5]
	s_cbranch_execnz .LBB6_684
.LBB6_685:
	s_or_b64 exec, exec, s[6:7]
	s_getpc_b64 s[4:5]
	s_add_u32 s4, s4, .str.28@rel32@lo+4
	s_addc_u32 s5, s5, .str.28@rel32@hi+12
	s_cmp_lg_u64 s[4:5], 0
	s_cbranch_scc0 .LBB6_778
; %bb.686:
	s_waitcnt vmcnt(0)
	v_and_b32_e32 v6, -3, v0
	v_mov_b32_e32 v7, v1
	s_mov_b64 s[6:7], 35
	v_mov_b32_e32 v29, 0
	v_mov_b32_e32 v4, 2
	;; [unrolled: 1-line block ×3, first 2 shown]
	s_branch .LBB6_688
.LBB6_687:                              ;   in Loop: Header=BB6_688 Depth=1
	s_or_b64 exec, exec, s[12:13]
	s_sub_u32 s6, s6, s8
	s_subb_u32 s7, s7, s9
	s_add_u32 s4, s4, s8
	s_addc_u32 s5, s5, s9
	s_cmp_lg_u64 s[6:7], 0
	s_cbranch_scc0 .LBB6_777
.LBB6_688:                              ; =>This Loop Header: Depth=1
                                        ;     Child Loop BB6_691 Depth 2
                                        ;     Child Loop BB6_700 Depth 2
	;; [unrolled: 1-line block ×11, first 2 shown]
	v_cmp_lt_u64_e64 s[0:1], s[6:7], 56
	s_and_b64 s[0:1], s[0:1], exec
	s_cselect_b32 s9, s7, 0
	s_cselect_b32 s8, s6, 56
	v_cmp_gt_u64_e64 s[10:11], s[6:7], 7
	s_add_u32 s0, s4, 8
	s_addc_u32 s1, s5, 0
	s_and_b64 vcc, exec, s[10:11]
	s_cbranch_vccnz .LBB6_692
; %bb.689:                              ;   in Loop: Header=BB6_688 Depth=1
	s_cmp_eq_u64 s[6:7], 0
	s_cbranch_scc1 .LBB6_693
; %bb.690:                              ;   in Loop: Header=BB6_688 Depth=1
	s_lshl_b64 s[0:1], s[8:9], 3
	s_mov_b64 s[10:11], 0
	s_waitcnt vmcnt(0)
	v_mov_b64_e32 v[8:9], 0
	s_mov_b64 s[12:13], s[4:5]
.LBB6_691:                              ;   Parent Loop BB6_688 Depth=1
                                        ; =>  This Inner Loop Header: Depth=2
	global_load_ubyte v2, v29, s[12:13]
	s_waitcnt vmcnt(0)
	v_and_b32_e32 v28, 0xffff, v2
	v_lshlrev_b64 v[2:3], s10, v[28:29]
	s_add_u32 s10, s10, 8
	s_addc_u32 s11, s11, 0
	s_add_u32 s12, s12, 1
	s_addc_u32 s13, s13, 0
	v_or_b32_e32 v8, v2, v8
	s_cmp_lg_u32 s0, s10
	v_or_b32_e32 v9, v3, v9
	s_cbranch_scc1 .LBB6_691
	s_branch .LBB6_694
.LBB6_692:                              ;   in Loop: Header=BB6_688 Depth=1
	s_mov_b64 s[10:11], -1
	s_branch .LBB6_695
.LBB6_693:                              ;   in Loop: Header=BB6_688 Depth=1
	s_waitcnt vmcnt(0)
	v_mov_b64_e32 v[8:9], 0
.LBB6_694:                              ;   in Loop: Header=BB6_688 Depth=1
	s_mov_b64 s[10:11], 0
	s_mov_b64 s[0:1], s[4:5]
.LBB6_695:                              ;   in Loop: Header=BB6_688 Depth=1
	s_andn2_b64 vcc, exec, s[10:11]
	s_mov_b32 s14, 0
	s_cbranch_vccnz .LBB6_697
; %bb.696:                              ;   in Loop: Header=BB6_688 Depth=1
	global_load_dwordx2 v[8:9], v29, s[4:5]
	s_add_i32 s14, s8, -8
.LBB6_697:                              ;   in Loop: Header=BB6_688 Depth=1
	s_add_u32 s10, s0, 8
	s_addc_u32 s11, s1, 0
	s_cmp_gt_u32 s14, 7
	s_cbranch_scc1 .LBB6_701
; %bb.698:                              ;   in Loop: Header=BB6_688 Depth=1
	s_cmp_eq_u32 s14, 0
	s_cbranch_scc1 .LBB6_702
; %bb.699:                              ;   in Loop: Header=BB6_688 Depth=1
	s_mov_b64 s[10:11], 0
	v_mov_b64_e32 v[10:11], 0
	s_mov_b64 s[12:13], 0
.LBB6_700:                              ;   Parent Loop BB6_688 Depth=1
                                        ; =>  This Inner Loop Header: Depth=2
	s_add_u32 s16, s0, s12
	s_addc_u32 s17, s1, s13
	global_load_ubyte v2, v29, s[16:17]
	s_add_u32 s12, s12, 1
	s_addc_u32 s13, s13, 0
	s_waitcnt vmcnt(0)
	v_and_b32_e32 v28, 0xffff, v2
	v_lshlrev_b64 v[2:3], s10, v[28:29]
	s_add_u32 s10, s10, 8
	s_addc_u32 s11, s11, 0
	v_or_b32_e32 v10, v2, v10
	s_cmp_lg_u32 s14, s12
	v_or_b32_e32 v11, v3, v11
	s_cbranch_scc1 .LBB6_700
	s_branch .LBB6_703
.LBB6_701:                              ;   in Loop: Header=BB6_688 Depth=1
	s_mov_b64 s[12:13], -1
                                        ; implicit-def: $vgpr10_vgpr11
	s_branch .LBB6_704
.LBB6_702:                              ;   in Loop: Header=BB6_688 Depth=1
	v_mov_b64_e32 v[10:11], 0
.LBB6_703:                              ;   in Loop: Header=BB6_688 Depth=1
	s_mov_b64 s[12:13], 0
	s_mov_b64 s[10:11], s[0:1]
.LBB6_704:                              ;   in Loop: Header=BB6_688 Depth=1
	s_andn2_b64 vcc, exec, s[12:13]
	s_mov_b32 s15, 0
	s_cbranch_vccnz .LBB6_706
; %bb.705:                              ;   in Loop: Header=BB6_688 Depth=1
	global_load_dwordx2 v[10:11], v29, s[0:1]
	s_add_i32 s15, s14, -8
.LBB6_706:                              ;   in Loop: Header=BB6_688 Depth=1
	s_add_u32 s0, s10, 8
	s_addc_u32 s1, s11, 0
	s_cmp_gt_u32 s15, 7
	s_cbranch_scc1 .LBB6_710
; %bb.707:                              ;   in Loop: Header=BB6_688 Depth=1
	s_cmp_eq_u32 s15, 0
	s_cbranch_scc1 .LBB6_711
; %bb.708:                              ;   in Loop: Header=BB6_688 Depth=1
	s_mov_b64 s[0:1], 0
	v_mov_b64_e32 v[12:13], 0
	s_mov_b64 s[12:13], 0
.LBB6_709:                              ;   Parent Loop BB6_688 Depth=1
                                        ; =>  This Inner Loop Header: Depth=2
	s_add_u32 s16, s10, s12
	s_addc_u32 s17, s11, s13
	global_load_ubyte v2, v29, s[16:17]
	s_add_u32 s12, s12, 1
	s_addc_u32 s13, s13, 0
	s_waitcnt vmcnt(0)
	v_and_b32_e32 v28, 0xffff, v2
	v_lshlrev_b64 v[2:3], s0, v[28:29]
	s_add_u32 s0, s0, 8
	s_addc_u32 s1, s1, 0
	v_or_b32_e32 v12, v2, v12
	s_cmp_lg_u32 s15, s12
	v_or_b32_e32 v13, v3, v13
	s_cbranch_scc1 .LBB6_709
	s_branch .LBB6_712
.LBB6_710:                              ;   in Loop: Header=BB6_688 Depth=1
	s_mov_b64 s[12:13], -1
	s_branch .LBB6_713
.LBB6_711:                              ;   in Loop: Header=BB6_688 Depth=1
	v_mov_b64_e32 v[12:13], 0
.LBB6_712:                              ;   in Loop: Header=BB6_688 Depth=1
	s_mov_b64 s[12:13], 0
	s_mov_b64 s[0:1], s[10:11]
.LBB6_713:                              ;   in Loop: Header=BB6_688 Depth=1
	s_andn2_b64 vcc, exec, s[12:13]
	s_mov_b32 s14, 0
	s_cbranch_vccnz .LBB6_715
; %bb.714:                              ;   in Loop: Header=BB6_688 Depth=1
	global_load_dwordx2 v[12:13], v29, s[10:11]
	s_add_i32 s14, s15, -8
.LBB6_715:                              ;   in Loop: Header=BB6_688 Depth=1
	s_add_u32 s10, s0, 8
	s_addc_u32 s11, s1, 0
	s_cmp_gt_u32 s14, 7
	s_cbranch_scc1 .LBB6_719
; %bb.716:                              ;   in Loop: Header=BB6_688 Depth=1
	s_cmp_eq_u32 s14, 0
	s_cbranch_scc1 .LBB6_720
; %bb.717:                              ;   in Loop: Header=BB6_688 Depth=1
	s_mov_b64 s[10:11], 0
	v_mov_b64_e32 v[14:15], 0
	s_mov_b64 s[12:13], 0
.LBB6_718:                              ;   Parent Loop BB6_688 Depth=1
                                        ; =>  This Inner Loop Header: Depth=2
	s_add_u32 s16, s0, s12
	s_addc_u32 s17, s1, s13
	global_load_ubyte v2, v29, s[16:17]
	s_add_u32 s12, s12, 1
	s_addc_u32 s13, s13, 0
	s_waitcnt vmcnt(0)
	v_and_b32_e32 v28, 0xffff, v2
	v_lshlrev_b64 v[2:3], s10, v[28:29]
	s_add_u32 s10, s10, 8
	s_addc_u32 s11, s11, 0
	v_or_b32_e32 v14, v2, v14
	s_cmp_lg_u32 s14, s12
	v_or_b32_e32 v15, v3, v15
	s_cbranch_scc1 .LBB6_718
	s_branch .LBB6_721
.LBB6_719:                              ;   in Loop: Header=BB6_688 Depth=1
	s_mov_b64 s[12:13], -1
                                        ; implicit-def: $vgpr14_vgpr15
	s_branch .LBB6_722
.LBB6_720:                              ;   in Loop: Header=BB6_688 Depth=1
	v_mov_b64_e32 v[14:15], 0
.LBB6_721:                              ;   in Loop: Header=BB6_688 Depth=1
	s_mov_b64 s[12:13], 0
	s_mov_b64 s[10:11], s[0:1]
.LBB6_722:                              ;   in Loop: Header=BB6_688 Depth=1
	s_andn2_b64 vcc, exec, s[12:13]
	s_mov_b32 s15, 0
	s_cbranch_vccnz .LBB6_724
; %bb.723:                              ;   in Loop: Header=BB6_688 Depth=1
	global_load_dwordx2 v[14:15], v29, s[0:1]
	s_add_i32 s15, s14, -8
.LBB6_724:                              ;   in Loop: Header=BB6_688 Depth=1
	s_add_u32 s0, s10, 8
	s_addc_u32 s1, s11, 0
	s_cmp_gt_u32 s15, 7
	s_cbranch_scc1 .LBB6_728
; %bb.725:                              ;   in Loop: Header=BB6_688 Depth=1
	s_cmp_eq_u32 s15, 0
	s_cbranch_scc1 .LBB6_729
; %bb.726:                              ;   in Loop: Header=BB6_688 Depth=1
	s_mov_b64 s[0:1], 0
	v_mov_b64_e32 v[16:17], 0
	s_mov_b64 s[12:13], 0
.LBB6_727:                              ;   Parent Loop BB6_688 Depth=1
                                        ; =>  This Inner Loop Header: Depth=2
	s_add_u32 s16, s10, s12
	s_addc_u32 s17, s11, s13
	global_load_ubyte v2, v29, s[16:17]
	s_add_u32 s12, s12, 1
	s_addc_u32 s13, s13, 0
	s_waitcnt vmcnt(0)
	v_and_b32_e32 v28, 0xffff, v2
	v_lshlrev_b64 v[2:3], s0, v[28:29]
	s_add_u32 s0, s0, 8
	s_addc_u32 s1, s1, 0
	v_or_b32_e32 v16, v2, v16
	s_cmp_lg_u32 s15, s12
	v_or_b32_e32 v17, v3, v17
	s_cbranch_scc1 .LBB6_727
	s_branch .LBB6_730
.LBB6_728:                              ;   in Loop: Header=BB6_688 Depth=1
	s_mov_b64 s[12:13], -1
	s_branch .LBB6_731
.LBB6_729:                              ;   in Loop: Header=BB6_688 Depth=1
	v_mov_b64_e32 v[16:17], 0
.LBB6_730:                              ;   in Loop: Header=BB6_688 Depth=1
	s_mov_b64 s[12:13], 0
	s_mov_b64 s[0:1], s[10:11]
.LBB6_731:                              ;   in Loop: Header=BB6_688 Depth=1
	s_andn2_b64 vcc, exec, s[12:13]
	s_mov_b32 s14, 0
	s_cbranch_vccnz .LBB6_733
; %bb.732:                              ;   in Loop: Header=BB6_688 Depth=1
	global_load_dwordx2 v[16:17], v29, s[10:11]
	s_add_i32 s14, s15, -8
.LBB6_733:                              ;   in Loop: Header=BB6_688 Depth=1
	s_add_u32 s10, s0, 8
	s_addc_u32 s11, s1, 0
	s_cmp_gt_u32 s14, 7
	s_cbranch_scc1 .LBB6_737
; %bb.734:                              ;   in Loop: Header=BB6_688 Depth=1
	s_cmp_eq_u32 s14, 0
	s_cbranch_scc1 .LBB6_738
; %bb.735:                              ;   in Loop: Header=BB6_688 Depth=1
	s_mov_b64 s[10:11], 0
	v_mov_b64_e32 v[18:19], 0
	s_mov_b64 s[12:13], 0
.LBB6_736:                              ;   Parent Loop BB6_688 Depth=1
                                        ; =>  This Inner Loop Header: Depth=2
	s_add_u32 s16, s0, s12
	s_addc_u32 s17, s1, s13
	global_load_ubyte v2, v29, s[16:17]
	s_add_u32 s12, s12, 1
	s_addc_u32 s13, s13, 0
	s_waitcnt vmcnt(0)
	v_and_b32_e32 v28, 0xffff, v2
	v_lshlrev_b64 v[2:3], s10, v[28:29]
	s_add_u32 s10, s10, 8
	s_addc_u32 s11, s11, 0
	v_or_b32_e32 v18, v2, v18
	s_cmp_lg_u32 s14, s12
	v_or_b32_e32 v19, v3, v19
	s_cbranch_scc1 .LBB6_736
	s_branch .LBB6_739
.LBB6_737:                              ;   in Loop: Header=BB6_688 Depth=1
	s_mov_b64 s[12:13], -1
                                        ; implicit-def: $vgpr18_vgpr19
	s_branch .LBB6_740
.LBB6_738:                              ;   in Loop: Header=BB6_688 Depth=1
	v_mov_b64_e32 v[18:19], 0
.LBB6_739:                              ;   in Loop: Header=BB6_688 Depth=1
	s_mov_b64 s[12:13], 0
	s_mov_b64 s[10:11], s[0:1]
.LBB6_740:                              ;   in Loop: Header=BB6_688 Depth=1
	s_andn2_b64 vcc, exec, s[12:13]
	s_mov_b32 s15, 0
	s_cbranch_vccnz .LBB6_742
; %bb.741:                              ;   in Loop: Header=BB6_688 Depth=1
	global_load_dwordx2 v[18:19], v29, s[0:1]
	s_add_i32 s15, s14, -8
.LBB6_742:                              ;   in Loop: Header=BB6_688 Depth=1
	s_cmp_gt_u32 s15, 7
	s_cbranch_scc1 .LBB6_746
; %bb.743:                              ;   in Loop: Header=BB6_688 Depth=1
	s_cmp_eq_u32 s15, 0
	s_cbranch_scc1 .LBB6_747
; %bb.744:                              ;   in Loop: Header=BB6_688 Depth=1
	s_mov_b64 s[0:1], 0
	v_mov_b64_e32 v[20:21], 0
	s_mov_b64 s[12:13], s[10:11]
.LBB6_745:                              ;   Parent Loop BB6_688 Depth=1
                                        ; =>  This Inner Loop Header: Depth=2
	global_load_ubyte v2, v29, s[12:13]
	s_add_i32 s15, s15, -1
	s_waitcnt vmcnt(0)
	v_and_b32_e32 v28, 0xffff, v2
	v_lshlrev_b64 v[2:3], s0, v[28:29]
	s_add_u32 s0, s0, 8
	s_addc_u32 s1, s1, 0
	s_add_u32 s12, s12, 1
	s_addc_u32 s13, s13, 0
	v_or_b32_e32 v20, v2, v20
	s_cmp_lg_u32 s15, 0
	v_or_b32_e32 v21, v3, v21
	s_cbranch_scc1 .LBB6_745
	s_branch .LBB6_748
.LBB6_746:                              ;   in Loop: Header=BB6_688 Depth=1
	s_mov_b64 s[0:1], -1
	s_branch .LBB6_749
.LBB6_747:                              ;   in Loop: Header=BB6_688 Depth=1
	v_mov_b64_e32 v[20:21], 0
.LBB6_748:                              ;   in Loop: Header=BB6_688 Depth=1
	s_mov_b64 s[0:1], 0
.LBB6_749:                              ;   in Loop: Header=BB6_688 Depth=1
	s_andn2_b64 vcc, exec, s[0:1]
	s_cbranch_vccnz .LBB6_751
; %bb.750:                              ;   in Loop: Header=BB6_688 Depth=1
	global_load_dwordx2 v[20:21], v29, s[10:11]
.LBB6_751:                              ;   in Loop: Header=BB6_688 Depth=1
	v_readfirstlane_b32 s0, v32
	v_mov_b64_e32 v[2:3], 0
	s_nop 0
	v_cmp_eq_u32_e64 s[0:1], s0, v32
	s_and_saveexec_b64 s[10:11], s[0:1]
	s_cbranch_execz .LBB6_757
; %bb.752:                              ;   in Loop: Header=BB6_688 Depth=1
	global_load_dwordx2 v[24:25], v29, s[2:3] offset:24 sc0 sc1
	s_waitcnt vmcnt(0)
	buffer_inv sc0 sc1
	global_load_dwordx2 v[2:3], v29, s[2:3] offset:40
	global_load_dwordx2 v[22:23], v29, s[2:3]
	s_waitcnt vmcnt(1)
	v_and_b32_e32 v2, v2, v24
	v_and_b32_e32 v3, v3, v25
	v_mul_lo_u32 v3, v3, 24
	v_mul_hi_u32 v27, v2, 24
	v_add_u32_e32 v3, v27, v3
	v_mul_lo_u32 v2, v2, 24
	s_waitcnt vmcnt(0)
	v_lshl_add_u64 v[2:3], v[22:23], 0, v[2:3]
	global_load_dwordx2 v[22:23], v[2:3], off sc0 sc1
	s_waitcnt vmcnt(0)
	global_atomic_cmpswap_x2 v[2:3], v29, v[22:25], s[2:3] offset:24 sc0 sc1
	s_waitcnt vmcnt(0)
	buffer_inv sc0 sc1
	v_cmp_ne_u64_e32 vcc, v[2:3], v[24:25]
	s_and_saveexec_b64 s[12:13], vcc
	s_cbranch_execz .LBB6_756
; %bb.753:                              ;   in Loop: Header=BB6_688 Depth=1
	s_mov_b64 s[14:15], 0
.LBB6_754:                              ;   Parent Loop BB6_688 Depth=1
                                        ; =>  This Inner Loop Header: Depth=2
	s_sleep 1
	global_load_dwordx2 v[22:23], v29, s[2:3] offset:40
	global_load_dwordx2 v[30:31], v29, s[2:3]
	v_mov_b64_e32 v[24:25], v[2:3]
	s_waitcnt vmcnt(1)
	v_and_b32_e32 v2, v22, v24
	s_waitcnt vmcnt(0)
	v_mad_u64_u32 v[2:3], s[16:17], v2, 24, v[30:31]
	v_and_b32_e32 v23, v23, v25
	v_mov_b32_e32 v22, v3
	v_mad_u64_u32 v[22:23], s[16:17], v23, 24, v[22:23]
	v_mov_b32_e32 v3, v22
	global_load_dwordx2 v[22:23], v[2:3], off sc0 sc1
	s_waitcnt vmcnt(0)
	global_atomic_cmpswap_x2 v[2:3], v29, v[22:25], s[2:3] offset:24 sc0 sc1
	s_waitcnt vmcnt(0)
	buffer_inv sc0 sc1
	v_cmp_eq_u64_e32 vcc, v[2:3], v[24:25]
	s_or_b64 s[14:15], vcc, s[14:15]
	s_andn2_b64 exec, exec, s[14:15]
	s_cbranch_execnz .LBB6_754
; %bb.755:                              ;   in Loop: Header=BB6_688 Depth=1
	s_or_b64 exec, exec, s[14:15]
.LBB6_756:                              ;   in Loop: Header=BB6_688 Depth=1
	s_or_b64 exec, exec, s[12:13]
.LBB6_757:                              ;   in Loop: Header=BB6_688 Depth=1
	s_or_b64 exec, exec, s[10:11]
	global_load_dwordx2 v[30:31], v29, s[2:3] offset:40
	global_load_dwordx4 v[22:25], v29, s[2:3]
	v_readfirstlane_b32 s11, v3
	v_readfirstlane_b32 s10, v2
	s_mov_b64 s[12:13], exec
	s_waitcnt vmcnt(1)
	v_readfirstlane_b32 s14, v30
	v_readfirstlane_b32 s15, v31
	s_and_b64 s[14:15], s[14:15], s[10:11]
	s_mul_i32 s16, s15, 24
	s_mul_hi_u32 s17, s14, 24
	s_add_i32 s17, s17, s16
	s_mul_i32 s16, s14, 24
	s_waitcnt vmcnt(0)
	v_lshl_add_u64 v[30:31], v[22:23], 0, s[16:17]
	s_and_saveexec_b64 s[16:17], s[0:1]
	s_cbranch_execz .LBB6_759
; %bb.758:                              ;   in Loop: Header=BB6_688 Depth=1
	v_mov_b64_e32 v[2:3], s[12:13]
	global_store_dwordx4 v[30:31], v[2:5], off offset:8
.LBB6_759:                              ;   in Loop: Header=BB6_688 Depth=1
	s_or_b64 exec, exec, s[16:17]
	s_lshl_b64 s[12:13], s[14:15], 12
	v_lshl_add_u64 v[2:3], v[24:25], 0, s[12:13]
	v_cmp_gt_u64_e64 s[12:13], s[6:7], 56
	s_and_b64 s[12:13], s[12:13], exec
	s_cselect_b32 s12, 0, 2
	s_lshl_b32 s13, s8, 2
	s_add_i32 s13, s13, 28
	v_and_b32_e32 v6, 0xffffff1f, v6
	s_and_b32 s13, s13, 0x1e0
	v_or_b32_e32 v6, s12, v6
	v_or_b32_e32 v6, s13, v6
	v_readfirstlane_b32 s12, v2
	v_readfirstlane_b32 s13, v3
	s_nop 4
	global_store_dwordx4 v26, v[6:9], s[12:13]
	global_store_dwordx4 v26, v[10:13], s[12:13] offset:16
	global_store_dwordx4 v26, v[14:17], s[12:13] offset:32
	;; [unrolled: 1-line block ×3, first 2 shown]
	s_and_saveexec_b64 s[12:13], s[0:1]
	s_cbranch_execz .LBB6_767
; %bb.760:                              ;   in Loop: Header=BB6_688 Depth=1
	global_load_dwordx2 v[14:15], v29, s[2:3] offset:32 sc0 sc1
	global_load_dwordx2 v[6:7], v29, s[2:3] offset:40
	v_mov_b32_e32 v12, s10
	v_mov_b32_e32 v13, s11
	s_waitcnt vmcnt(0)
	v_readfirstlane_b32 s14, v6
	v_readfirstlane_b32 s15, v7
	s_and_b64 s[14:15], s[14:15], s[10:11]
	s_mul_i32 s15, s15, 24
	s_mul_hi_u32 s16, s14, 24
	s_mul_i32 s14, s14, 24
	s_add_i32 s15, s16, s15
	v_lshl_add_u64 v[10:11], v[22:23], 0, s[14:15]
	global_store_dwordx2 v[10:11], v[14:15], off
	buffer_wbl2 sc0 sc1
	s_waitcnt vmcnt(0)
	global_atomic_cmpswap_x2 v[8:9], v29, v[12:15], s[2:3] offset:32 sc0 sc1
	s_waitcnt vmcnt(0)
	v_cmp_ne_u64_e32 vcc, v[8:9], v[14:15]
	s_and_saveexec_b64 s[14:15], vcc
	s_cbranch_execz .LBB6_763
; %bb.761:                              ;   in Loop: Header=BB6_688 Depth=1
	s_mov_b64 s[16:17], 0
.LBB6_762:                              ;   Parent Loop BB6_688 Depth=1
                                        ; =>  This Inner Loop Header: Depth=2
	s_sleep 1
	global_store_dwordx2 v[10:11], v[8:9], off
	v_mov_b32_e32 v6, s10
	v_mov_b32_e32 v7, s11
	buffer_wbl2 sc0 sc1
	s_waitcnt vmcnt(0)
	global_atomic_cmpswap_x2 v[6:7], v29, v[6:9], s[2:3] offset:32 sc0 sc1
	s_waitcnt vmcnt(0)
	v_cmp_eq_u64_e32 vcc, v[6:7], v[8:9]
	s_or_b64 s[16:17], vcc, s[16:17]
	v_mov_b64_e32 v[8:9], v[6:7]
	s_andn2_b64 exec, exec, s[16:17]
	s_cbranch_execnz .LBB6_762
.LBB6_763:                              ;   in Loop: Header=BB6_688 Depth=1
	s_or_b64 exec, exec, s[14:15]
	global_load_dwordx2 v[6:7], v29, s[2:3] offset:16
	s_mov_b64 s[16:17], exec
	v_mbcnt_lo_u32_b32 v8, s16, 0
	v_mbcnt_hi_u32_b32 v8, s17, v8
	v_cmp_eq_u32_e32 vcc, 0, v8
	s_and_saveexec_b64 s[14:15], vcc
	s_cbranch_execz .LBB6_765
; %bb.764:                              ;   in Loop: Header=BB6_688 Depth=1
	s_bcnt1_i32_b64 s16, s[16:17]
	v_mov_b32_e32 v28, s16
	buffer_wbl2 sc0 sc1
	s_waitcnt vmcnt(0)
	global_atomic_add_x2 v[6:7], v[28:29], off offset:8 sc1
.LBB6_765:                              ;   in Loop: Header=BB6_688 Depth=1
	s_or_b64 exec, exec, s[14:15]
	s_waitcnt vmcnt(0)
	global_load_dwordx2 v[8:9], v[6:7], off offset:16
	s_waitcnt vmcnt(0)
	v_cmp_eq_u64_e32 vcc, 0, v[8:9]
	s_cbranch_vccnz .LBB6_767
; %bb.766:                              ;   in Loop: Header=BB6_688 Depth=1
	global_load_dword v28, v[6:7], off offset:24
	s_waitcnt vmcnt(0)
	v_readfirstlane_b32 s14, v28
	s_and_b32 m0, s14, 0xffffff
	buffer_wbl2 sc0 sc1
	global_store_dwordx2 v[8:9], v[28:29], off sc0 sc1
	s_sendmsg sendmsg(MSG_INTERRUPT)
.LBB6_767:                              ;   in Loop: Header=BB6_688 Depth=1
	s_or_b64 exec, exec, s[12:13]
	v_mov_b32_e32 v27, v29
	v_lshl_add_u64 v[2:3], v[2:3], 0, v[26:27]
	s_branch .LBB6_771
.LBB6_768:                              ;   in Loop: Header=BB6_771 Depth=2
	s_or_b64 exec, exec, s[12:13]
	v_readfirstlane_b32 s12, v6
	s_cmp_eq_u32 s12, 0
	s_cbranch_scc1 .LBB6_770
; %bb.769:                              ;   in Loop: Header=BB6_771 Depth=2
	s_sleep 1
	s_cbranch_execnz .LBB6_771
	s_branch .LBB6_773
.LBB6_770:                              ;   in Loop: Header=BB6_688 Depth=1
	s_branch .LBB6_773
.LBB6_771:                              ;   Parent Loop BB6_688 Depth=1
                                        ; =>  This Inner Loop Header: Depth=2
	v_mov_b32_e32 v6, 1
	s_and_saveexec_b64 s[12:13], s[0:1]
	s_cbranch_execz .LBB6_768
; %bb.772:                              ;   in Loop: Header=BB6_771 Depth=2
	global_load_dword v6, v[30:31], off offset:20 sc0 sc1
	s_waitcnt vmcnt(0)
	buffer_inv sc0 sc1
	v_and_b32_e32 v6, 1, v6
	s_branch .LBB6_768
.LBB6_773:                              ;   in Loop: Header=BB6_688 Depth=1
	global_load_dwordx4 v[6:9], v[2:3], off
	s_and_saveexec_b64 s[12:13], s[0:1]
	s_cbranch_execz .LBB6_687
; %bb.774:                              ;   in Loop: Header=BB6_688 Depth=1
	global_load_dwordx2 v[2:3], v29, s[2:3] offset:40
	global_load_dwordx2 v[12:13], v29, s[2:3] offset:24 sc0 sc1
	global_load_dwordx2 v[8:9], v29, s[2:3]
	s_waitcnt vmcnt(2)
	v_readfirstlane_b32 s14, v2
	v_readfirstlane_b32 s15, v3
	s_add_u32 s16, s14, 1
	s_addc_u32 s17, s15, 0
	s_add_u32 s0, s16, s10
	s_addc_u32 s1, s17, s11
	s_cmp_eq_u64 s[0:1], 0
	s_cselect_b32 s1, s17, s1
	s_cselect_b32 s0, s16, s0
	s_and_b64 s[10:11], s[0:1], s[14:15]
	s_mul_i32 s11, s11, 24
	s_mul_hi_u32 s14, s10, 24
	s_mul_i32 s10, s10, 24
	s_add_i32 s11, s14, s11
	s_waitcnt vmcnt(0)
	v_lshl_add_u64 v[2:3], v[8:9], 0, s[10:11]
	v_mov_b32_e32 v10, s0
	global_store_dwordx2 v[2:3], v[12:13], off
	v_mov_b32_e32 v11, s1
	buffer_wbl2 sc0 sc1
	s_waitcnt vmcnt(0)
	global_atomic_cmpswap_x2 v[10:11], v29, v[10:13], s[2:3] offset:24 sc0 sc1
	s_waitcnt vmcnt(0)
	v_cmp_ne_u64_e32 vcc, v[10:11], v[12:13]
	s_and_b64 exec, exec, vcc
	s_cbranch_execz .LBB6_687
; %bb.775:                              ;   in Loop: Header=BB6_688 Depth=1
	s_mov_b64 s[10:11], 0
.LBB6_776:                              ;   Parent Loop BB6_688 Depth=1
                                        ; =>  This Inner Loop Header: Depth=2
	s_sleep 1
	global_store_dwordx2 v[2:3], v[10:11], off
	v_mov_b32_e32 v8, s0
	v_mov_b32_e32 v9, s1
	buffer_wbl2 sc0 sc1
	s_waitcnt vmcnt(0)
	global_atomic_cmpswap_x2 v[8:9], v29, v[8:11], s[2:3] offset:24 sc0 sc1
	s_waitcnt vmcnt(0)
	v_cmp_eq_u64_e32 vcc, v[8:9], v[10:11]
	s_or_b64 s[10:11], vcc, s[10:11]
	v_mov_b64_e32 v[10:11], v[8:9]
	s_andn2_b64 exec, exec, s[10:11]
	s_cbranch_execnz .LBB6_776
	s_branch .LBB6_687
.LBB6_777:
	s_mov_b64 s[0:1], 0
	s_branch .LBB6_779
.LBB6_778:
	s_mov_b64 s[0:1], -1
.LBB6_779:
	s_and_b64 vcc, exec, s[0:1]
	s_cbranch_vccz .LBB6_806
; %bb.780:
	v_readfirstlane_b32 s0, v32
	s_waitcnt vmcnt(0)
	v_mov_b64_e32 v[8:9], 0
	v_cmp_eq_u32_e64 s[0:1], s0, v32
	s_and_saveexec_b64 s[4:5], s[0:1]
	s_cbranch_execz .LBB6_786
; %bb.781:
	v_mov_b32_e32 v2, 0
	global_load_dwordx2 v[6:7], v2, s[2:3] offset:24 sc0 sc1
	s_waitcnt vmcnt(0)
	buffer_inv sc0 sc1
	global_load_dwordx2 v[4:5], v2, s[2:3] offset:40
	global_load_dwordx2 v[8:9], v2, s[2:3]
	s_waitcnt vmcnt(1)
	v_and_b32_e32 v3, v4, v6
	v_and_b32_e32 v4, v5, v7
	v_mul_lo_u32 v4, v4, 24
	v_mul_hi_u32 v5, v3, 24
	v_add_u32_e32 v5, v5, v4
	v_mul_lo_u32 v4, v3, 24
	s_waitcnt vmcnt(0)
	v_lshl_add_u64 v[4:5], v[8:9], 0, v[4:5]
	global_load_dwordx2 v[4:5], v[4:5], off sc0 sc1
	s_waitcnt vmcnt(0)
	global_atomic_cmpswap_x2 v[8:9], v2, v[4:7], s[2:3] offset:24 sc0 sc1
	s_waitcnt vmcnt(0)
	buffer_inv sc0 sc1
	v_cmp_ne_u64_e32 vcc, v[8:9], v[6:7]
	s_and_saveexec_b64 s[6:7], vcc
	s_cbranch_execz .LBB6_785
; %bb.782:
	s_mov_b64 s[8:9], 0
.LBB6_783:                              ; =>This Inner Loop Header: Depth=1
	s_sleep 1
	global_load_dwordx2 v[4:5], v2, s[2:3] offset:40
	global_load_dwordx2 v[10:11], v2, s[2:3]
	v_mov_b64_e32 v[6:7], v[8:9]
	s_waitcnt vmcnt(1)
	v_and_b32_e32 v4, v4, v6
	v_and_b32_e32 v3, v5, v7
	s_waitcnt vmcnt(0)
	v_mad_u64_u32 v[4:5], s[10:11], v4, 24, v[10:11]
	v_mov_b32_e32 v8, v5
	v_mad_u64_u32 v[8:9], s[10:11], v3, 24, v[8:9]
	v_mov_b32_e32 v5, v8
	global_load_dwordx2 v[4:5], v[4:5], off sc0 sc1
	s_waitcnt vmcnt(0)
	global_atomic_cmpswap_x2 v[8:9], v2, v[4:7], s[2:3] offset:24 sc0 sc1
	s_waitcnt vmcnt(0)
	buffer_inv sc0 sc1
	v_cmp_eq_u64_e32 vcc, v[8:9], v[6:7]
	s_or_b64 s[8:9], vcc, s[8:9]
	s_andn2_b64 exec, exec, s[8:9]
	s_cbranch_execnz .LBB6_783
; %bb.784:
	s_or_b64 exec, exec, s[8:9]
	s_mov_b64 s[72:73], 0
.LBB6_785:
	s_or_b64 exec, exec, s[6:7]
.LBB6_786:
	s_or_b64 exec, exec, s[4:5]
	v_mov_b32_e32 v2, 0
	global_load_dwordx2 v[10:11], v2, s[2:3] offset:40
	global_load_dwordx4 v[4:7], v2, s[2:3]
	v_readfirstlane_b32 s5, v9
	v_readfirstlane_b32 s4, v8
	s_mov_b64 s[6:7], exec
	s_waitcnt vmcnt(1)
	v_readfirstlane_b32 s8, v10
	v_readfirstlane_b32 s9, v11
	s_and_b64 s[8:9], s[8:9], s[4:5]
	s_mul_i32 s10, s9, 24
	s_mul_hi_u32 s11, s8, 24
	s_add_i32 s11, s11, s10
	s_mul_i32 s10, s8, 24
	s_waitcnt vmcnt(0)
	v_lshl_add_u64 v[8:9], v[4:5], 0, s[10:11]
	s_and_saveexec_b64 s[10:11], s[0:1]
	s_cbranch_execz .LBB6_788
; %bb.787:
	v_mov_b64_e32 v[10:11], s[6:7]
	v_mov_b32_e32 v12, 2
	v_mov_b32_e32 v13, 1
	global_store_dwordx4 v[8:9], v[10:13], off offset:8
.LBB6_788:
	s_or_b64 exec, exec, s[10:11]
	s_lshl_b64 s[6:7], s[8:9], 12
	v_lshl_add_u64 v[6:7], v[6:7], 0, s[6:7]
	s_movk_i32 s6, 0xff1d
	s_mov_b32 s8, 0
	v_and_or_b32 v0, v0, s6, 34
	v_mov_b32_e32 v3, v2
	v_readfirstlane_b32 s6, v6
	v_readfirstlane_b32 s7, v7
	s_mov_b32 s9, s8
	s_mov_b32 s10, s8
	;; [unrolled: 1-line block ×3, first 2 shown]
	s_nop 1
	global_store_dwordx4 v26, v[0:3], s[6:7]
	s_nop 1
	v_mov_b64_e32 v[0:1], s[8:9]
	v_mov_b64_e32 v[2:3], s[10:11]
	global_store_dwordx4 v26, v[0:3], s[6:7] offset:16
	global_store_dwordx4 v26, v[0:3], s[6:7] offset:32
	;; [unrolled: 1-line block ×3, first 2 shown]
	s_and_saveexec_b64 s[6:7], s[0:1]
	s_cbranch_execz .LBB6_796
; %bb.789:
	v_mov_b32_e32 v6, 0
	global_load_dwordx2 v[12:13], v6, s[2:3] offset:32 sc0 sc1
	global_load_dwordx2 v[0:1], v6, s[2:3] offset:40
	v_mov_b32_e32 v10, s4
	v_mov_b32_e32 v11, s5
	s_waitcnt vmcnt(0)
	v_readfirstlane_b32 s8, v0
	v_readfirstlane_b32 s9, v1
	s_and_b64 s[8:9], s[8:9], s[4:5]
	s_mul_i32 s9, s9, 24
	s_mul_hi_u32 s10, s8, 24
	s_mul_i32 s8, s8, 24
	s_add_i32 s9, s10, s9
	v_lshl_add_u64 v[4:5], v[4:5], 0, s[8:9]
	global_store_dwordx2 v[4:5], v[12:13], off
	buffer_wbl2 sc0 sc1
	s_waitcnt vmcnt(0)
	global_atomic_cmpswap_x2 v[2:3], v6, v[10:13], s[2:3] offset:32 sc0 sc1
	s_waitcnt vmcnt(0)
	v_cmp_ne_u64_e32 vcc, v[2:3], v[12:13]
	s_and_saveexec_b64 s[8:9], vcc
	s_cbranch_execz .LBB6_792
; %bb.790:
	s_mov_b64 s[10:11], 0
.LBB6_791:                              ; =>This Inner Loop Header: Depth=1
	s_sleep 1
	global_store_dwordx2 v[4:5], v[2:3], off
	v_mov_b32_e32 v0, s4
	v_mov_b32_e32 v1, s5
	buffer_wbl2 sc0 sc1
	s_waitcnt vmcnt(0)
	global_atomic_cmpswap_x2 v[0:1], v6, v[0:3], s[2:3] offset:32 sc0 sc1
	s_waitcnt vmcnt(0)
	v_cmp_eq_u64_e32 vcc, v[0:1], v[2:3]
	s_or_b64 s[10:11], vcc, s[10:11]
	v_mov_b64_e32 v[2:3], v[0:1]
	s_andn2_b64 exec, exec, s[10:11]
	s_cbranch_execnz .LBB6_791
.LBB6_792:
	s_or_b64 exec, exec, s[8:9]
	v_mov_b32_e32 v3, 0
	global_load_dwordx2 v[0:1], v3, s[2:3] offset:16
	s_mov_b64 s[8:9], exec
	v_mbcnt_lo_u32_b32 v2, s8, 0
	v_mbcnt_hi_u32_b32 v2, s9, v2
	v_cmp_eq_u32_e32 vcc, 0, v2
	s_and_saveexec_b64 s[10:11], vcc
	s_cbranch_execz .LBB6_794
; %bb.793:
	s_bcnt1_i32_b64 s8, s[8:9]
	v_mov_b32_e32 v2, s8
	buffer_wbl2 sc0 sc1
	s_waitcnt vmcnt(0)
	global_atomic_add_x2 v[0:1], v[2:3], off offset:8 sc1
.LBB6_794:
	s_or_b64 exec, exec, s[10:11]
	s_waitcnt vmcnt(0)
	global_load_dwordx2 v[2:3], v[0:1], off offset:16
	s_mov_b64 s[72:73], 0
	s_waitcnt vmcnt(0)
	v_cmp_eq_u64_e32 vcc, 0, v[2:3]
	s_cbranch_vccnz .LBB6_796
; %bb.795:
	global_load_dword v0, v[0:1], off offset:24
	v_mov_b32_e32 v1, 0
	s_waitcnt vmcnt(0)
	v_readfirstlane_b32 s8, v0
	s_and_b32 m0, s8, 0xffffff
	buffer_wbl2 sc0 sc1
	global_store_dwordx2 v[2:3], v[0:1], off sc0 sc1
	s_sendmsg sendmsg(MSG_INTERRUPT)
.LBB6_796:
	s_or_b64 exec, exec, s[6:7]
	s_branch .LBB6_800
.LBB6_797:                              ;   in Loop: Header=BB6_800 Depth=1
	s_or_b64 exec, exec, s[6:7]
	v_readfirstlane_b32 s6, v0
	s_cmp_eq_u32 s6, 0
	s_cbranch_scc1 .LBB6_799
; %bb.798:                              ;   in Loop: Header=BB6_800 Depth=1
	s_sleep 1
	s_cbranch_execnz .LBB6_800
	s_branch .LBB6_802
.LBB6_799:
	s_branch .LBB6_802
.LBB6_800:                              ; =>This Inner Loop Header: Depth=1
	v_mov_b32_e32 v0, 1
	s_and_saveexec_b64 s[6:7], s[0:1]
	s_cbranch_execz .LBB6_797
; %bb.801:                              ;   in Loop: Header=BB6_800 Depth=1
	global_load_dword v0, v[8:9], off offset:20 sc0 sc1
	s_waitcnt vmcnt(0)
	buffer_inv sc0 sc1
	v_and_b32_e32 v0, 1, v0
	s_branch .LBB6_797
.LBB6_802:
	s_and_saveexec_b64 s[6:7], s[0:1]
	s_cbranch_execz .LBB6_805
; %bb.803:
	v_mov_b32_e32 v6, 0
	global_load_dwordx2 v[0:1], v6, s[2:3] offset:40
	global_load_dwordx2 v[10:11], v6, s[2:3] offset:24 sc0 sc1
	global_load_dwordx2 v[2:3], v6, s[2:3]
	s_waitcnt vmcnt(2)
	v_readfirstlane_b32 s8, v0
	v_readfirstlane_b32 s9, v1
	s_add_u32 s10, s8, 1
	s_addc_u32 s11, s9, 0
	s_add_u32 s0, s10, s4
	s_addc_u32 s1, s11, s5
	s_cmp_eq_u64 s[0:1], 0
	s_cselect_b32 s1, s11, s1
	s_cselect_b32 s0, s10, s0
	s_and_b64 s[4:5], s[0:1], s[8:9]
	s_mul_i32 s5, s5, 24
	s_mul_hi_u32 s8, s4, 24
	s_mul_i32 s4, s4, 24
	s_add_i32 s5, s8, s5
	s_waitcnt vmcnt(0)
	v_lshl_add_u64 v[4:5], v[2:3], 0, s[4:5]
	v_mov_b32_e32 v8, s0
	global_store_dwordx2 v[4:5], v[10:11], off
	v_mov_b32_e32 v9, s1
	buffer_wbl2 sc0 sc1
	s_waitcnt vmcnt(0)
	global_atomic_cmpswap_x2 v[2:3], v6, v[8:11], s[2:3] offset:24 sc0 sc1
	s_mov_b64 s[4:5], 0
	s_waitcnt vmcnt(0)
	v_cmp_ne_u64_e32 vcc, v[2:3], v[10:11]
	s_and_b64 exec, exec, vcc
	s_cbranch_execz .LBB6_805
.LBB6_804:                              ; =>This Inner Loop Header: Depth=1
	s_sleep 1
	global_store_dwordx2 v[4:5], v[2:3], off
	v_mov_b32_e32 v0, s0
	v_mov_b32_e32 v1, s1
	buffer_wbl2 sc0 sc1
	s_waitcnt vmcnt(0)
	global_atomic_cmpswap_x2 v[0:1], v6, v[0:3], s[2:3] offset:24 sc0 sc1
	s_waitcnt vmcnt(0)
	v_cmp_eq_u64_e32 vcc, v[0:1], v[2:3]
	s_or_b64 s[4:5], vcc, s[4:5]
	v_mov_b64_e32 v[2:3], v[0:1]
	s_andn2_b64 exec, exec, s[4:5]
	s_cbranch_execnz .LBB6_804
.LBB6_805:
	s_or_b64 exec, exec, s[6:7]
.LBB6_806:
	s_getpc_b64 s[0:1]
	s_add_u32 s0, s0, .str.29@rel32@lo+4
	s_addc_u32 s1, s1, .str.29@rel32@hi+12
	s_getpc_b64 s[2:3]
	s_add_u32 s2, s2, .str.19@rel32@lo+4
	s_addc_u32 s3, s3, .str.19@rel32@hi+12
	s_getpc_b64 s[4:5]
	s_add_u32 s4, s4, __PRETTY_FUNCTION__._ZN7VecsMemIjLi8192EE5fetchEi@rel32@lo+4
	s_addc_u32 s5, s5, __PRETTY_FUNCTION__._ZN7VecsMemIjLi8192EE5fetchEi@rel32@hi+12
	s_getpc_b64 s[6:7]
	s_add_u32 s6, s6, __assert_fail@rel32@lo+4
	s_addc_u32 s7, s7, __assert_fail@rel32@hi+12
	s_mov_b64 s[8:9], s[64:65]
	s_waitcnt vmcnt(0)
	v_mov_b32_e32 v0, s0
	v_mov_b32_e32 v1, s1
	;; [unrolled: 1-line block ×7, first 2 shown]
	s_swappc_b64 s[30:31], s[6:7]
	s_or_b64 s[0:1], s[22:23], exec
.LBB6_807:
	s_or_b64 exec, exec, s[44:45]
	s_andn2_b64 s[2:3], s[22:23], exec
	s_and_b64 s[0:1], s[0:1], exec
	s_or_b64 s[44:45], s[2:3], s[0:1]
	s_orn2_b64 s[0:1], s[90:91], exec
.LBB6_808:
	s_or_b64 exec, exec, s[46:47]
	s_mov_b64 s[2:3], 0
                                        ; implicit-def: $vgpr41
	s_and_saveexec_b64 s[90:91], s[0:1]
	s_cbranch_execz .LBB6_1910
; %bb.809:
	v_mov_b32_e32 v0, 0
	v_cmp_lt_i32_e32 vcc, 0, v56
	scratch_store_dwordx2 off, v[68:69], s33 offset:144
	s_and_saveexec_b64 s[0:1], vcc
	s_cbranch_execz .LBB6_817
; %bb.810:
	v_mov_b32_e32 v4, 0
	s_mov_b32 s6, 0
	v_mov_b64_e32 v[2:3], v[64:65]
	v_mov_b32_e32 v0, 0
	s_branch .LBB6_812
.LBB6_811:                              ;   in Loop: Header=BB6_812 Depth=1
	s_or_b64 exec, exec, s[4:5]
	flat_load_dword v1, v[54:55] offset:4
	s_add_i32 s6, s6, 1
	v_lshl_add_u64 v[2:3], v[2:3], 0, 4
	s_waitcnt vmcnt(0) lgkmcnt(0)
	v_cmp_ge_i32_e32 vcc, s6, v1
	s_or_b64 s[2:3], vcc, s[2:3]
	s_andn2_b64 exec, exec, s[2:3]
	s_cbranch_execz .LBB6_816
.LBB6_812:                              ; =>This Inner Loop Header: Depth=1
	flat_load_dword v5, v[2:3]
	s_waitcnt vmcnt(0) lgkmcnt(0)
	v_cmp_gt_i32_e32 vcc, 0, v5
	s_and_saveexec_b64 s[4:5], vcc
	s_xor_b64 s[4:5], exec, s[4:5]
	s_cbranch_execz .LBB6_814
; %bb.813:                              ;   in Loop: Header=BB6_812 Depth=1
	v_and_b32_e32 v1, 0x7fffffff, v5
	flat_store_dword v[2:3], v1
                                        ; implicit-def: $vgpr5
.LBB6_814:                              ;   in Loop: Header=BB6_812 Depth=1
	s_andn2_saveexec_b64 s[4:5], s[4:5]
	s_cbranch_execz .LBB6_811
; %bb.815:                              ;   in Loop: Header=BB6_812 Depth=1
	v_ashrrev_i32_e32 v1, 31, v0
	v_add_u32_e32 v4, 1, v0
	v_lshl_add_u64 v[0:1], v[0:1], 2, v[68:69]
	flat_store_dword v[0:1], v5
	v_mov_b32_e32 v0, v4
	s_branch .LBB6_811
.LBB6_816:
	s_or_b64 exec, exec, s[2:3]
	scratch_store_dword off, v4, s33 offset:140
.LBB6_817:
	s_or_b64 exec, exec, s[0:1]
	v_cmp_ne_u32_e32 vcc, v66, v0
	s_mov_b64 s[46:47], s[44:45]
	s_and_saveexec_b64 s[0:1], vcc
	s_xor_b64 s[92:93], exec, s[0:1]
	s_cbranch_execz .LBB6_819
; %bb.818:
	s_getpc_b64 s[0:1]
	s_add_u32 s0, s0, .str.40@rel32@lo+4
	s_addc_u32 s1, s1, .str.40@rel32@hi+12
	s_getpc_b64 s[2:3]
	s_add_u32 s2, s2, .str.31@rel32@lo+4
	s_addc_u32 s3, s3, .str.31@rel32@hi+12
	s_getpc_b64 s[4:5]
	s_add_u32 s4, s4, __PRETTY_FUNCTION__._ZN3sop17sopDivideInternalEPNS_3SopES1_S1_S1_P7VecsMemIjLi8192EE@rel32@lo+4
	s_addc_u32 s5, s5, __PRETTY_FUNCTION__._ZN3sop17sopDivideInternalEPNS_3SopES1_S1_S1_P7VecsMemIjLi8192EE@rel32@hi+12
	s_getpc_b64 s[6:7]
	s_add_u32 s6, s6, __assert_fail@rel32@lo+4
	s_addc_u32 s7, s7, __assert_fail@rel32@hi+12
	s_mov_b64 s[8:9], s[64:65]
	v_mov_b32_e32 v0, s0
	v_mov_b32_e32 v1, s1
	v_mov_b32_e32 v2, s2
	v_mov_b32_e32 v3, s3
	v_mov_b32_e32 v4, 0x167
	v_mov_b32_e32 v5, s4
	v_mov_b32_e32 v6, s5
	s_swappc_b64 s[30:31], s[6:7]
	s_or_b64 s[46:47], s[44:45], exec
                                        ; implicit-def: $vgpr58_vgpr59
                                        ; implicit-def: $vgpr42_vgpr43
                                        ; implicit-def: $vgpr44
                                        ; implicit-def: $vgpr53
                                        ; implicit-def: $vgpr70_vgpr71
                                        ; implicit-def: $vgpr54_vgpr55
                                        ; implicit-def: $vgpr64_vgpr65
.LBB6_819:
	s_or_saveexec_b64 s[92:93], s[92:93]
	s_mov_b64 s[0:1], 0
                                        ; implicit-def: $vgpr41
	s_xor_b64 exec, exec, s[92:93]
	s_cbranch_execz .LBB6_1909
; %bb.820:
	v_cmp_gt_i32_e32 vcc, 1, v80
	s_mov_b64 s[2:3], s[46:47]
	s_and_saveexec_b64 s[0:1], vcc
	s_xor_b64 s[94:95], exec, s[0:1]
	s_cbranch_execz .LBB6_822
; %bb.821:
	s_getpc_b64 s[0:1]
	s_add_u32 s0, s0, .str.33@rel32@lo+4
	s_addc_u32 s1, s1, .str.33@rel32@hi+12
	s_getpc_b64 s[2:3]
	s_add_u32 s2, s2, .str.31@rel32@lo+4
	s_addc_u32 s3, s3, .str.31@rel32@hi+12
	s_getpc_b64 s[4:5]
	s_add_u32 s4, s4, __PRETTY_FUNCTION__._ZN3sop18sopCommonCubeCoverEPNS_3SopES1_P7VecsMemIjLi8192EE@rel32@lo+4
	s_addc_u32 s5, s5, __PRETTY_FUNCTION__._ZN3sop18sopCommonCubeCoverEPNS_3SopES1_P7VecsMemIjLi8192EE@rel32@hi+12
	s_getpc_b64 s[6:7]
	s_add_u32 s6, s6, __assert_fail@rel32@lo+4
	s_addc_u32 s7, s7, __assert_fail@rel32@hi+12
	s_mov_b64 s[8:9], s[64:65]
	v_mov_b32_e32 v0, s0
	v_mov_b32_e32 v1, s1
	;; [unrolled: 1-line block ×7, first 2 shown]
	s_swappc_b64 s[30:31], s[6:7]
	s_or_b64 s[2:3], s[46:47], exec
                                        ; implicit-def: $vgpr58_vgpr59
                                        ; implicit-def: $vgpr42_vgpr43
                                        ; implicit-def: $vgpr44
                                        ; implicit-def: $vgpr53
                                        ; implicit-def: $vgpr70_vgpr71
                                        ; implicit-def: $vgpr54_vgpr55
                                        ; implicit-def: $vgpr64_vgpr65
.LBB6_822:
	s_or_saveexec_b64 s[4:5], s[94:95]
	s_mov_b64 s[0:1], 0
                                        ; implicit-def: $vgpr41
	s_xor_b64 exec, exec, s[4:5]
	s_cbranch_execz .LBB6_1908
; %bb.823:
	v_cmp_ne_u32_e32 vcc, 1, v80
	s_mov_b64 s[0:1], -1
	v_mov_b32_e32 v0, 0
	v_mov_b32_e32 v2, -1
	s_and_saveexec_b64 s[6:7], vcc
	s_cbranch_execz .LBB6_827
; %bb.824:
	v_and_b32_e32 v0, 0x7ffffffe, v80
	v_mov_b32_e32 v1, -1
	s_mov_b64 s[8:9], 0
	v_mov_b64_e32 v[2:3], v[70:71]
	v_mov_b32_e32 v5, v0
	v_mov_b32_e32 v4, -1
.LBB6_825:                              ; =>This Inner Loop Header: Depth=1
	flat_load_dwordx2 v[6:7], v[2:3]
	v_add_u32_e32 v5, -2, v5
	v_cmp_eq_u32_e64 s[0:1], 0, v5
	v_lshl_add_u64 v[2:3], v[2:3], 0, 8
	s_or_b64 s[8:9], s[0:1], s[8:9]
	s_waitcnt vmcnt(0) lgkmcnt(0)
	v_and_b32_e32 v4, v7, v4
	v_and_b32_e32 v1, v6, v1
	s_andn2_b64 exec, exec, s[8:9]
	s_cbranch_execnz .LBB6_825
; %bb.826:
	s_or_b64 exec, exec, s[8:9]
	v_cmp_ne_u32_e64 s[0:1], v80, v0
	v_and_b32_e32 v2, v1, v4
	s_orn2_b64 s[0:1], s[0:1], exec
.LBB6_827:
	s_or_b64 exec, exec, s[6:7]
	s_and_saveexec_b64 s[6:7], s[0:1]
	s_cbranch_execz .LBB6_831
; %bb.828:
	v_mov_b32_e32 v1, 0
	v_sub_u32_e32 v3, v80, v0
	v_lshl_add_u64 v[0:1], v[0:1], 2, v[70:71]
	s_mov_b64 s[8:9], 0
.LBB6_829:                              ; =>This Inner Loop Header: Depth=1
	flat_load_dword v4, v[0:1]
	v_add_u32_e32 v3, -1, v3
	v_cmp_eq_u32_e64 s[0:1], 0, v3
	v_lshl_add_u64 v[0:1], v[0:1], 0, 4
	s_or_b64 s[8:9], s[0:1], s[8:9]
	s_waitcnt vmcnt(0) lgkmcnt(0)
	v_and_b32_e32 v2, v4, v2
	s_andn2_b64 exec, exec, s[8:9]
	s_cbranch_execnz .LBB6_829
; %bb.830:
	s_or_b64 exec, exec, s[8:9]
.LBB6_831:
	s_or_b64 exec, exec, s[6:7]
	v_cmp_ne_u32_e64 s[0:1], 0, v2
	s_mov_b64 s[38:39], 0
	s_mov_b64 s[34:35], s[2:3]
                                        ; implicit-def: $vgpr41
	s_mov_b64 s[6:7], exec
	v_writelane_b32 v47, s42, 22
	s_and_b64 s[8:9], s[6:7], s[0:1]
	s_xor_b64 s[0:1], s[8:9], s[6:7]
	v_writelane_b32 v47, s43, 23
	v_writelane_b32 v47, s56, 18
	s_nop 1
	v_writelane_b32 v47, s57, 19
	v_writelane_b32 v47, s26, 14
	s_nop 1
	;; [unrolled: 3-line block ×14, first 2 shown]
	v_writelane_b32 v47, s3, 7
	s_mov_b64 exec, s[8:9]
	s_cbranch_execz .LBB6_1690
; %bb.832:
	flat_load_dword v0, v[58:59]
	v_writelane_b32 v47, s0, 38
	s_mov_b64 s[22:23], 0
                                        ; implicit-def: $vgpr41
	s_nop 0
	v_writelane_b32 v47, s1, 39
	v_writelane_b32 v47, s88, 36
	s_movk_i32 s0, 0x2000
	s_waitcnt vmcnt(0) lgkmcnt(0)
	v_cmp_gt_i32_e64 s[0:1], s0, v0
	v_writelane_b32 v47, s89, 37
	v_writelane_b32 v47, s58, 16
	s_nop 1
	v_writelane_b32 v47, s59, 17
	v_writelane_b32 v47, s24, 20
	s_nop 1
	v_writelane_b32 v47, s25, 21
	v_writelane_b32 v47, s28, 26
	s_mov_b64 s[24:25], s[2:3]
	s_nop 0
	v_writelane_b32 v47, s29, 27
	v_writelane_b32 v47, s62, 40
	s_nop 1
	v_writelane_b32 v47, s63, 41
	s_and_saveexec_b64 s[2:3], s[0:1]
	s_xor_b64 s[0:1], exec, s[2:3]
	s_cbranch_execz .LBB6_1541
; %bb.833:
	v_writelane_b32 v47, s0, 42
	v_add_u32_e32 v1, 1, v0
	s_mov_b64 s[2:3], -1
	v_mov_b32_e32 v2, 0
	v_mov_b32_e32 v4, -1
	v_writelane_b32 v47, s1, 43
	flat_store_dword v[58:59], v1
	s_and_saveexec_b64 s[0:1], vcc
	s_cbranch_execz .LBB6_837
; %bb.834:
	v_and_b32_e32 v2, 0x7ffffffe, v80
	v_mov_b32_e32 v1, -1
	s_mov_b64 s[2:3], 0
	v_mov_b64_e32 v[4:5], v[70:71]
	v_mov_b32_e32 v6, v2
	v_mov_b32_e32 v3, -1
.LBB6_835:                              ; =>This Inner Loop Header: Depth=1
	flat_load_dwordx2 v[8:9], v[4:5]
	v_add_u32_e32 v6, -2, v6
	v_cmp_eq_u32_e32 vcc, 0, v6
	v_lshl_add_u64 v[4:5], v[4:5], 0, 8
	s_or_b64 s[2:3], vcc, s[2:3]
	s_waitcnt vmcnt(0) lgkmcnt(0)
	v_and_b32_e32 v3, v9, v3
	v_and_b32_e32 v1, v8, v1
	s_andn2_b64 exec, exec, s[2:3]
	s_cbranch_execnz .LBB6_835
; %bb.836:
	s_or_b64 exec, exec, s[2:3]
	v_cmp_ne_u32_e32 vcc, v80, v2
	v_and_b32_e32 v4, v1, v3
	s_orn2_b64 s[2:3], vcc, exec
.LBB6_837:
	s_or_b64 exec, exec, s[0:1]
	s_and_saveexec_b64 s[0:1], s[2:3]
	s_cbranch_execz .LBB6_841
; %bb.838:
	v_mov_b32_e32 v3, 0
	v_sub_u32_e32 v1, v80, v2
	v_lshl_add_u64 v[2:3], v[2:3], 2, v[70:71]
	s_mov_b64 s[2:3], 0
.LBB6_839:                              ; =>This Inner Loop Header: Depth=1
	flat_load_dword v5, v[2:3]
	v_add_u32_e32 v1, -1, v1
	v_cmp_eq_u32_e32 vcc, 0, v1
	v_lshl_add_u64 v[2:3], v[2:3], 0, 4
	s_or_b64 s[2:3], vcc, s[2:3]
	s_waitcnt vmcnt(0) lgkmcnt(0)
	v_and_b32_e32 v4, v5, v4
	s_andn2_b64 exec, exec, s[2:3]
	s_cbranch_execnz .LBB6_839
; %bb.840:
	s_or_b64 exec, exec, s[2:3]
.LBB6_841:
	s_or_b64 exec, exec, s[0:1]
	v_ashrrev_i32_e32 v1, 31, v0
	v_lshl_add_u64 v[0:1], v[0:1], 2, v[58:59]
	v_mov_b32_e32 v2, -1
	flat_store_dword v[0:1], v4 offset:4
	s_mov_b64 s[2:3], exec
	v_readlane_b32 s0, v47, 40
	v_readlane_b32 s1, v47, 41
	s_and_b64 s[0:1], s[2:3], s[0:1]
	s_mov_b64 exec, s[0:1]
	s_cbranch_execz .LBB6_857
; %bb.842:
	s_mov_b32 s12, 0
	v_mov_b32_e32 v5, -1
	s_mov_b64 s[4:5], 0
	v_mov_b32_e32 v1, 0
	v_mov_b32_e32 v6, -1
	s_branch .LBB6_846
.LBB6_843:                              ;   in Loop: Header=BB6_846 Depth=1
	s_or_b64 exec, exec, s[8:9]
.LBB6_844:                              ;   in Loop: Header=BB6_846 Depth=1
	s_or_b64 exec, exec, s[0:1]
	v_cmp_lt_u32_e32 vcc, 1, v8
	v_cmp_lt_i32_e64 s[0:1], v5, v8
	v_mov_b32_e32 v0, s12
	s_and_b64 vcc, vcc, s[0:1]
	v_cndmask_b32_e32 v6, v6, v0, vcc
	v_cndmask_b32_e32 v5, v5, v8, vcc
.LBB6_845:                              ;   in Loop: Header=BB6_846 Depth=1
	s_or_b64 exec, exec, s[6:7]
	s_add_i32 s12, s12, 1
	v_cmp_eq_u32_e32 vcc, s12, v44
	s_or_b64 s[4:5], vcc, s[4:5]
	s_andn2_b64 exec, exec, s[4:5]
	s_cbranch_execz .LBB6_856
.LBB6_846:                              ; =>This Loop Header: Depth=1
                                        ;     Child Loop BB6_850 Depth 2
                                        ;     Child Loop BB6_854 Depth 2
	v_lshrrev_b32_e32 v0, s12, v4
	v_and_b32_e32 v0, 1, v0
	v_cmp_eq_u32_e32 vcc, 1, v0
	s_and_saveexec_b64 s[6:7], vcc
	s_cbranch_execz .LBB6_845
; %bb.847:                              ;   in Loop: Header=BB6_846 Depth=1
	flat_load_dword v7, v[54:55] offset:4
	v_mov_b32_e32 v8, 0
	s_waitcnt vmcnt(0) lgkmcnt(0)
	v_cmp_lt_i32_e32 vcc, 0, v7
	s_and_saveexec_b64 s[0:1], vcc
	s_cbranch_execz .LBB6_844
; %bb.848:                              ;   in Loop: Header=BB6_846 Depth=1
	v_cmp_ne_u32_e32 vcc, 1, v7
	s_mov_b64 s[10:11], -1
	v_mov_b32_e32 v0, 0
	v_mov_b32_e32 v8, 0
	s_and_saveexec_b64 s[8:9], vcc
	s_cbranch_execz .LBB6_852
; %bb.849:                              ;   in Loop: Header=BB6_846 Depth=1
	v_and_b32_e32 v0, 0x7ffffffe, v7
	s_mov_b32 s13, s12
	v_mov_b32_e32 v8, 0
	s_mov_b64 s[10:11], 0
	v_mov_b64_e32 v[2:3], v[64:65]
	v_mov_b32_e32 v10, v0
	v_mov_b32_e32 v9, 0
.LBB6_850:                              ;   Parent Loop BB6_846 Depth=1
                                        ; =>  This Inner Loop Header: Depth=2
	flat_load_dwordx2 v[12:13], v[2:3]
	v_add_u32_e32 v10, -2, v10
	v_cmp_eq_u32_e32 vcc, 0, v10
	v_lshl_add_u64 v[2:3], v[2:3], 0, 8
	s_or_b64 s[10:11], vcc, s[10:11]
	s_waitcnt vmcnt(0) lgkmcnt(0)
	v_lshrrev_b32_e32 v11, s13, v13
	v_lshrrev_b32_e32 v12, s12, v12
	v_and_b32_e32 v11, 1, v11
	v_and_b32_e32 v12, 1, v12
	v_add_u32_e32 v9, v11, v9
	v_add_u32_e32 v8, v12, v8
	s_andn2_b64 exec, exec, s[10:11]
	s_cbranch_execnz .LBB6_850
; %bb.851:                              ;   in Loop: Header=BB6_846 Depth=1
	s_or_b64 exec, exec, s[10:11]
	v_cmp_ne_u32_e32 vcc, v7, v0
	v_add_u32_e32 v8, v8, v9
	s_orn2_b64 s[10:11], vcc, exec
.LBB6_852:                              ;   in Loop: Header=BB6_846 Depth=1
	s_or_b64 exec, exec, s[8:9]
	s_and_saveexec_b64 s[8:9], s[10:11]
	s_cbranch_execz .LBB6_843
; %bb.853:                              ;   in Loop: Header=BB6_846 Depth=1
	v_sub_u32_e32 v7, v7, v0
	v_lshl_add_u64 v[2:3], v[0:1], 2, v[64:65]
	s_mov_b64 s[10:11], 0
.LBB6_854:                              ;   Parent Loop BB6_846 Depth=1
                                        ; =>  This Inner Loop Header: Depth=2
	flat_load_dword v0, v[2:3]
	v_add_u32_e32 v7, -1, v7
	v_cmp_eq_u32_e32 vcc, 0, v7
	v_lshl_add_u64 v[2:3], v[2:3], 0, 4
	s_or_b64 s[10:11], vcc, s[10:11]
	s_waitcnt vmcnt(0) lgkmcnt(0)
	v_bfe_u32 v0, v0, s12, 1
	v_add_u32_e32 v8, v0, v8
	s_andn2_b64 exec, exec, s[10:11]
	s_cbranch_execnz .LBB6_854
; %bb.855:                              ;   in Loop: Header=BB6_846 Depth=1
	s_or_b64 exec, exec, s[10:11]
	s_branch .LBB6_843
.LBB6_856:
	s_or_b64 exec, exec, s[4:5]
	v_cmp_lt_i32_e32 vcc, -1, v5
	s_nop 1
	v_cndmask_b32_e32 v2, -1, v6, vcc
.LBB6_857:
	s_or_b64 exec, exec, s[2:3]
	flat_load_dword v0, v[58:59]
	s_movk_i32 s0, 0x2000
	v_readlane_b32 s24, v47, 6
	s_mov_b64 s[22:23], 0
	v_readlane_b32 s25, v47, 7
                                        ; implicit-def: $vgpr41
	s_waitcnt vmcnt(0) lgkmcnt(0)
	v_cmp_gt_i32_e32 vcc, s0, v0
	s_and_saveexec_b64 s[0:1], vcc
	s_xor_b64 s[0:1], exec, s[0:1]
	v_writelane_b32 v47, s0, 44
	s_nop 1
	v_writelane_b32 v47, s1, 45
	s_cbranch_execz .LBB6_1392
; %bb.858:
	v_add_u32_e32 v1, 1, v0
	flat_store_dword v[58:59], v1
	v_ashrrev_i32_e32 v1, 31, v0
	v_lshl_add_u64 v[66:67], v[0:1], 2, v[58:59]
	v_lshlrev_b32_e64 v53, v2, 1
	flat_store_dword v[66:67], v53 offset:4
	flat_load_dword v70, v[54:55] offset:4
	v_readlane_b32 s84, v47, 6
	v_mov_b32_e32 v0, 0
	s_mov_b64 s[0:1], -1
	v_mov_b64_e32 v[68:69], 0
	v_readlane_b32 s85, v47, 7
	scratch_store_dword off, v0, s33 offset:44
	s_waitcnt vmcnt(0) lgkmcnt(0)
	v_cmp_lt_i32_e64 s[22:23], 0, v70
	s_and_saveexec_b64 s[24:25], s[22:23]
	s_cbranch_execz .LBB6_1010
; %bb.859:
	flat_load_dword v0, v[58:59]
	s_movk_i32 s0, 0x2001
	s_mov_b64 s[26:27], 0
	v_mov_b64_e32 v[68:69], 0
	s_waitcnt vmcnt(0) lgkmcnt(0)
	v_add_u32_e32 v0, v0, v70
	v_cmp_gt_i32_e32 vcc, s0, v0
	s_and_saveexec_b64 s[0:1], vcc
	s_xor_b64 s[0:1], exec, s[0:1]
	s_cbranch_execz .LBB6_861
; %bb.860:
	v_ashrrev_i32_e32 v1, 31, v0
	v_mov_b32_e32 v71, 0
	flat_store_dword v[58:59], v0
	v_lshl_add_u64 v[0:1], v[0:1], 2, v[58:59]
	v_lshlrev_b64 v[2:3], 2, v[70:71]
	v_sub_co_u32_e32 v0, vcc, v0, v2
	s_mov_b64 s[26:27], exec
	s_nop 0
	v_subb_co_u32_e32 v1, vcc, v1, v3, vcc
	v_lshl_add_u64 v[68:69], v[0:1], 0, 4
.LBB6_861:
	s_or_saveexec_b64 s[28:29], s[0:1]
	v_readlane_b32 s0, v47, 6
	v_readlane_b32 s1, v47, 7
	s_xor_b64 exec, exec, s[28:29]
	s_cbranch_execz .LBB6_1009
; %bb.862:
	s_load_dwordx2 s[2:3], s[64:65], 0x50
	v_mbcnt_lo_u32_b32 v0, -1, 0
	v_mbcnt_hi_u32_b32 v32, -1, v0
	v_mov_b64_e32 v[4:5], 0
	v_readfirstlane_b32 s0, v32
	s_nop 1
	v_cmp_eq_u32_e64 s[0:1], s0, v32
	s_and_saveexec_b64 s[4:5], s[0:1]
	s_cbranch_execz .LBB6_868
; %bb.863:
	v_mov_b32_e32 v0, 0
	s_waitcnt lgkmcnt(0)
	global_load_dwordx2 v[6:7], v0, s[2:3] offset:24 sc0 sc1
	s_waitcnt vmcnt(0)
	buffer_inv sc0 sc1
	global_load_dwordx2 v[2:3], v0, s[2:3] offset:40
	global_load_dwordx2 v[4:5], v0, s[2:3]
	s_waitcnt vmcnt(1)
	v_and_b32_e32 v1, v2, v6
	v_and_b32_e32 v2, v3, v7
	v_mul_lo_u32 v2, v2, 24
	v_mul_hi_u32 v3, v1, 24
	v_add_u32_e32 v3, v3, v2
	v_mul_lo_u32 v2, v1, 24
	s_waitcnt vmcnt(0)
	v_lshl_add_u64 v[2:3], v[4:5], 0, v[2:3]
	global_load_dwordx2 v[4:5], v[2:3], off sc0 sc1
	s_waitcnt vmcnt(0)
	global_atomic_cmpswap_x2 v[4:5], v0, v[4:7], s[2:3] offset:24 sc0 sc1
	s_waitcnt vmcnt(0)
	buffer_inv sc0 sc1
	v_cmp_ne_u64_e32 vcc, v[4:5], v[6:7]
	s_and_saveexec_b64 s[6:7], vcc
	s_cbranch_execz .LBB6_867
; %bb.864:
	s_mov_b64 s[8:9], 0
.LBB6_865:                              ; =>This Inner Loop Header: Depth=1
	s_sleep 1
	global_load_dwordx2 v[2:3], v0, s[2:3] offset:40
	global_load_dwordx2 v[8:9], v0, s[2:3]
	v_mov_b64_e32 v[6:7], v[4:5]
	s_waitcnt vmcnt(1)
	v_and_b32_e32 v2, v2, v6
	v_and_b32_e32 v1, v3, v7
	s_waitcnt vmcnt(0)
	v_mad_u64_u32 v[2:3], s[10:11], v2, 24, v[8:9]
	v_mov_b32_e32 v4, v3
	v_mad_u64_u32 v[4:5], s[10:11], v1, 24, v[4:5]
	v_mov_b32_e32 v3, v4
	global_load_dwordx2 v[4:5], v[2:3], off sc0 sc1
	s_waitcnt vmcnt(0)
	global_atomic_cmpswap_x2 v[4:5], v0, v[4:7], s[2:3] offset:24 sc0 sc1
	s_waitcnt vmcnt(0)
	buffer_inv sc0 sc1
	v_cmp_eq_u64_e32 vcc, v[4:5], v[6:7]
	s_or_b64 s[8:9], vcc, s[8:9]
	s_andn2_b64 exec, exec, s[8:9]
	s_cbranch_execnz .LBB6_865
; %bb.866:
	s_or_b64 exec, exec, s[8:9]
.LBB6_867:
	s_or_b64 exec, exec, s[6:7]
.LBB6_868:
	s_or_b64 exec, exec, s[4:5]
	v_mov_b32_e32 v27, 0
	s_waitcnt lgkmcnt(0)
	global_load_dwordx2 v[6:7], v27, s[2:3] offset:40
	global_load_dwordx4 v[0:3], v27, s[2:3]
	v_readfirstlane_b32 s5, v5
	v_readfirstlane_b32 s4, v4
	s_mov_b64 s[6:7], exec
	s_waitcnt vmcnt(0)
	v_readfirstlane_b32 s8, v6
	v_readfirstlane_b32 s9, v7
	s_and_b64 s[8:9], s[8:9], s[4:5]
	s_mul_i32 s10, s9, 24
	s_mul_hi_u32 s11, s8, 24
	s_add_i32 s11, s11, s10
	s_mul_i32 s10, s8, 24
	v_lshl_add_u64 v[4:5], v[0:1], 0, s[10:11]
	s_and_saveexec_b64 s[10:11], s[0:1]
	s_cbranch_execz .LBB6_870
; %bb.869:
	v_mov_b64_e32 v[6:7], s[6:7]
	v_mov_b32_e32 v8, 2
	v_mov_b32_e32 v9, 1
	global_store_dwordx4 v[4:5], v[6:9], off offset:8
.LBB6_870:
	s_or_b64 exec, exec, s[10:11]
	s_lshl_b64 s[6:7], s[8:9], 12
	v_lshl_add_u64 v[6:7], v[2:3], 0, s[6:7]
	s_mov_b32 s8, 0
	v_lshlrev_b32_e32 v26, 6, v32
	v_mov_b32_e32 v8, 33
	v_mov_b32_e32 v9, v27
	;; [unrolled: 1-line block ×4, first 2 shown]
	v_readfirstlane_b32 s6, v6
	v_readfirstlane_b32 s7, v7
	s_mov_b32 s9, s8
	s_mov_b32 s10, s8
	;; [unrolled: 1-line block ×3, first 2 shown]
	s_nop 1
	global_store_dwordx4 v26, v[8:11], s[6:7]
	s_nop 1
	v_mov_b64_e32 v[8:9], s[8:9]
	v_mov_b64_e32 v[10:11], s[10:11]
	global_store_dwordx4 v26, v[8:11], s[6:7] offset:16
	global_store_dwordx4 v26, v[8:11], s[6:7] offset:32
	global_store_dwordx4 v26, v[8:11], s[6:7] offset:48
	s_and_saveexec_b64 s[6:7], s[0:1]
	s_cbranch_execz .LBB6_878
; %bb.871:
	v_mov_b32_e32 v10, 0
	global_load_dwordx2 v[14:15], v10, s[2:3] offset:32 sc0 sc1
	global_load_dwordx2 v[2:3], v10, s[2:3] offset:40
	v_mov_b32_e32 v12, s4
	v_mov_b32_e32 v13, s5
	s_waitcnt vmcnt(0)
	v_and_b32_e32 v2, s4, v2
	v_and_b32_e32 v3, s5, v3
	v_mul_lo_u32 v3, v3, 24
	v_mul_hi_u32 v8, v2, 24
	v_mul_lo_u32 v2, v2, 24
	v_add_u32_e32 v3, v8, v3
	v_lshl_add_u64 v[8:9], v[0:1], 0, v[2:3]
	global_store_dwordx2 v[8:9], v[14:15], off
	buffer_wbl2 sc0 sc1
	s_waitcnt vmcnt(0)
	global_atomic_cmpswap_x2 v[2:3], v10, v[12:15], s[2:3] offset:32 sc0 sc1
	s_waitcnt vmcnt(0)
	v_cmp_ne_u64_e32 vcc, v[2:3], v[14:15]
	s_and_saveexec_b64 s[8:9], vcc
	s_cbranch_execz .LBB6_874
; %bb.872:
	s_mov_b64 s[10:11], 0
.LBB6_873:                              ; =>This Inner Loop Header: Depth=1
	s_sleep 1
	global_store_dwordx2 v[8:9], v[2:3], off
	v_mov_b32_e32 v0, s4
	v_mov_b32_e32 v1, s5
	buffer_wbl2 sc0 sc1
	s_waitcnt vmcnt(0)
	global_atomic_cmpswap_x2 v[0:1], v10, v[0:3], s[2:3] offset:32 sc0 sc1
	s_waitcnt vmcnt(0)
	v_cmp_eq_u64_e32 vcc, v[0:1], v[2:3]
	s_or_b64 s[10:11], vcc, s[10:11]
	v_mov_b64_e32 v[2:3], v[0:1]
	s_andn2_b64 exec, exec, s[10:11]
	s_cbranch_execnz .LBB6_873
.LBB6_874:
	s_or_b64 exec, exec, s[8:9]
	v_mov_b32_e32 v3, 0
	global_load_dwordx2 v[0:1], v3, s[2:3] offset:16
	s_mov_b64 s[8:9], exec
	v_mbcnt_lo_u32_b32 v2, s8, 0
	v_mbcnt_hi_u32_b32 v2, s9, v2
	v_cmp_eq_u32_e32 vcc, 0, v2
	s_and_saveexec_b64 s[10:11], vcc
	s_cbranch_execz .LBB6_876
; %bb.875:
	s_bcnt1_i32_b64 s8, s[8:9]
	v_mov_b32_e32 v2, s8
	buffer_wbl2 sc0 sc1
	s_waitcnt vmcnt(0)
	global_atomic_add_x2 v[0:1], v[2:3], off offset:8 sc1
.LBB6_876:
	s_or_b64 exec, exec, s[10:11]
	s_waitcnt vmcnt(0)
	global_load_dwordx2 v[2:3], v[0:1], off offset:16
	s_waitcnt vmcnt(0)
	v_cmp_eq_u64_e32 vcc, 0, v[2:3]
	s_cbranch_vccnz .LBB6_878
; %bb.877:
	global_load_dword v0, v[0:1], off offset:24
	v_mov_b32_e32 v1, 0
	s_waitcnt vmcnt(0)
	v_readfirstlane_b32 s8, v0
	s_and_b32 m0, s8, 0xffffff
	buffer_wbl2 sc0 sc1
	global_store_dwordx2 v[2:3], v[0:1], off sc0 sc1
	s_sendmsg sendmsg(MSG_INTERRUPT)
.LBB6_878:
	s_or_b64 exec, exec, s[6:7]
	v_lshl_add_u64 v[0:1], v[6:7], 0, v[26:27]
	s_branch .LBB6_882
.LBB6_879:                              ;   in Loop: Header=BB6_882 Depth=1
	s_or_b64 exec, exec, s[6:7]
	v_readfirstlane_b32 s6, v2
	s_cmp_eq_u32 s6, 0
	s_cbranch_scc1 .LBB6_881
; %bb.880:                              ;   in Loop: Header=BB6_882 Depth=1
	s_sleep 1
	s_cbranch_execnz .LBB6_882
	s_branch .LBB6_884
.LBB6_881:
	s_branch .LBB6_884
.LBB6_882:                              ; =>This Inner Loop Header: Depth=1
	v_mov_b32_e32 v2, 1
	s_and_saveexec_b64 s[6:7], s[0:1]
	s_cbranch_execz .LBB6_879
; %bb.883:                              ;   in Loop: Header=BB6_882 Depth=1
	global_load_dword v2, v[4:5], off offset:20 sc0 sc1
	s_waitcnt vmcnt(0)
	buffer_inv sc0 sc1
	v_and_b32_e32 v2, 1, v2
	s_branch .LBB6_879
.LBB6_884:
	global_load_dwordx2 v[0:1], v[0:1], off
	s_and_saveexec_b64 s[6:7], s[0:1]
	s_cbranch_execz .LBB6_887
; %bb.885:
	v_mov_b32_e32 v8, 0
	global_load_dwordx2 v[2:3], v8, s[2:3] offset:40
	global_load_dwordx2 v[12:13], v8, s[2:3] offset:24 sc0 sc1
	global_load_dwordx2 v[4:5], v8, s[2:3]
	s_waitcnt vmcnt(2)
	v_readfirstlane_b32 s8, v2
	v_readfirstlane_b32 s9, v3
	s_add_u32 s10, s8, 1
	s_addc_u32 s11, s9, 0
	s_add_u32 s0, s10, s4
	s_addc_u32 s1, s11, s5
	s_cmp_eq_u64 s[0:1], 0
	s_cselect_b32 s1, s11, s1
	s_cselect_b32 s0, s10, s0
	s_and_b64 s[4:5], s[0:1], s[8:9]
	s_mul_i32 s5, s5, 24
	s_mul_hi_u32 s8, s4, 24
	s_mul_i32 s4, s4, 24
	s_add_i32 s5, s8, s5
	s_waitcnt vmcnt(0)
	v_lshl_add_u64 v[6:7], v[4:5], 0, s[4:5]
	v_mov_b32_e32 v10, s0
	global_store_dwordx2 v[6:7], v[12:13], off
	v_mov_b32_e32 v11, s1
	buffer_wbl2 sc0 sc1
	s_waitcnt vmcnt(0)
	global_atomic_cmpswap_x2 v[4:5], v8, v[10:13], s[2:3] offset:24 sc0 sc1
	s_mov_b64 s[4:5], 0
	s_waitcnt vmcnt(0)
	v_cmp_ne_u64_e32 vcc, v[4:5], v[12:13]
	s_and_b64 exec, exec, vcc
	s_cbranch_execz .LBB6_887
.LBB6_886:                              ; =>This Inner Loop Header: Depth=1
	s_sleep 1
	global_store_dwordx2 v[6:7], v[4:5], off
	v_mov_b32_e32 v2, s0
	v_mov_b32_e32 v3, s1
	buffer_wbl2 sc0 sc1
	s_waitcnt vmcnt(0)
	global_atomic_cmpswap_x2 v[2:3], v8, v[2:5], s[2:3] offset:24 sc0 sc1
	s_waitcnt vmcnt(0)
	v_cmp_eq_u64_e32 vcc, v[2:3], v[4:5]
	s_or_b64 s[4:5], vcc, s[4:5]
	v_mov_b64_e32 v[4:5], v[2:3]
	s_andn2_b64 exec, exec, s[4:5]
	s_cbranch_execnz .LBB6_886
.LBB6_887:
	s_or_b64 exec, exec, s[6:7]
	s_getpc_b64 s[4:5]
	s_add_u32 s4, s4, .str.28@rel32@lo+4
	s_addc_u32 s5, s5, .str.28@rel32@hi+12
	s_cmp_lg_u64 s[4:5], 0
	s_cbranch_scc0 .LBB6_980
; %bb.888:
	s_waitcnt vmcnt(0)
	v_and_b32_e32 v6, -3, v0
	v_mov_b32_e32 v7, v1
	s_mov_b64 s[6:7], 35
	v_mov_b32_e32 v29, 0
	v_mov_b32_e32 v4, 2
	v_mov_b32_e32 v5, 1
	s_branch .LBB6_890
.LBB6_889:                              ;   in Loop: Header=BB6_890 Depth=1
	s_or_b64 exec, exec, s[12:13]
	s_sub_u32 s6, s6, s8
	s_subb_u32 s7, s7, s9
	s_add_u32 s4, s4, s8
	s_addc_u32 s5, s5, s9
	s_cmp_lg_u64 s[6:7], 0
	s_cbranch_scc0 .LBB6_979
.LBB6_890:                              ; =>This Loop Header: Depth=1
                                        ;     Child Loop BB6_893 Depth 2
                                        ;     Child Loop BB6_902 Depth 2
	;; [unrolled: 1-line block ×11, first 2 shown]
	v_cmp_lt_u64_e64 s[0:1], s[6:7], 56
	s_and_b64 s[0:1], s[0:1], exec
	s_cselect_b32 s9, s7, 0
	s_cselect_b32 s8, s6, 56
	v_cmp_gt_u64_e64 s[10:11], s[6:7], 7
	s_add_u32 s0, s4, 8
	s_addc_u32 s1, s5, 0
	s_and_b64 vcc, exec, s[10:11]
	s_cbranch_vccnz .LBB6_894
; %bb.891:                              ;   in Loop: Header=BB6_890 Depth=1
	s_cmp_eq_u64 s[6:7], 0
	s_cbranch_scc1 .LBB6_895
; %bb.892:                              ;   in Loop: Header=BB6_890 Depth=1
	s_lshl_b64 s[0:1], s[8:9], 3
	s_mov_b64 s[10:11], 0
	s_waitcnt vmcnt(0)
	v_mov_b64_e32 v[8:9], 0
	s_mov_b64 s[12:13], s[4:5]
.LBB6_893:                              ;   Parent Loop BB6_890 Depth=1
                                        ; =>  This Inner Loop Header: Depth=2
	global_load_ubyte v2, v29, s[12:13]
	s_waitcnt vmcnt(0)
	v_and_b32_e32 v28, 0xffff, v2
	v_lshlrev_b64 v[2:3], s10, v[28:29]
	s_add_u32 s10, s10, 8
	s_addc_u32 s11, s11, 0
	s_add_u32 s12, s12, 1
	s_addc_u32 s13, s13, 0
	v_or_b32_e32 v8, v2, v8
	s_cmp_lg_u32 s0, s10
	v_or_b32_e32 v9, v3, v9
	s_cbranch_scc1 .LBB6_893
	s_branch .LBB6_896
.LBB6_894:                              ;   in Loop: Header=BB6_890 Depth=1
	s_mov_b64 s[10:11], -1
	s_branch .LBB6_897
.LBB6_895:                              ;   in Loop: Header=BB6_890 Depth=1
	s_waitcnt vmcnt(0)
	v_mov_b64_e32 v[8:9], 0
.LBB6_896:                              ;   in Loop: Header=BB6_890 Depth=1
	s_mov_b64 s[10:11], 0
	s_mov_b64 s[0:1], s[4:5]
.LBB6_897:                              ;   in Loop: Header=BB6_890 Depth=1
	s_andn2_b64 vcc, exec, s[10:11]
	s_mov_b32 s14, 0
	s_cbranch_vccnz .LBB6_899
; %bb.898:                              ;   in Loop: Header=BB6_890 Depth=1
	global_load_dwordx2 v[8:9], v29, s[4:5]
	s_add_i32 s14, s8, -8
.LBB6_899:                              ;   in Loop: Header=BB6_890 Depth=1
	s_add_u32 s10, s0, 8
	s_addc_u32 s11, s1, 0
	s_cmp_gt_u32 s14, 7
	s_cbranch_scc1 .LBB6_903
; %bb.900:                              ;   in Loop: Header=BB6_890 Depth=1
	s_cmp_eq_u32 s14, 0
	s_cbranch_scc1 .LBB6_904
; %bb.901:                              ;   in Loop: Header=BB6_890 Depth=1
	s_mov_b64 s[10:11], 0
	v_mov_b64_e32 v[10:11], 0
	s_mov_b64 s[12:13], 0
.LBB6_902:                              ;   Parent Loop BB6_890 Depth=1
                                        ; =>  This Inner Loop Header: Depth=2
	s_add_u32 s16, s0, s12
	s_addc_u32 s17, s1, s13
	global_load_ubyte v2, v29, s[16:17]
	s_add_u32 s12, s12, 1
	s_addc_u32 s13, s13, 0
	s_waitcnt vmcnt(0)
	v_and_b32_e32 v28, 0xffff, v2
	v_lshlrev_b64 v[2:3], s10, v[28:29]
	s_add_u32 s10, s10, 8
	s_addc_u32 s11, s11, 0
	v_or_b32_e32 v10, v2, v10
	s_cmp_lg_u32 s14, s12
	v_or_b32_e32 v11, v3, v11
	s_cbranch_scc1 .LBB6_902
	s_branch .LBB6_905
.LBB6_903:                              ;   in Loop: Header=BB6_890 Depth=1
	s_mov_b64 s[12:13], -1
                                        ; implicit-def: $vgpr10_vgpr11
	s_branch .LBB6_906
.LBB6_904:                              ;   in Loop: Header=BB6_890 Depth=1
	v_mov_b64_e32 v[10:11], 0
.LBB6_905:                              ;   in Loop: Header=BB6_890 Depth=1
	s_mov_b64 s[12:13], 0
	s_mov_b64 s[10:11], s[0:1]
.LBB6_906:                              ;   in Loop: Header=BB6_890 Depth=1
	s_andn2_b64 vcc, exec, s[12:13]
	s_mov_b32 s15, 0
	s_cbranch_vccnz .LBB6_908
; %bb.907:                              ;   in Loop: Header=BB6_890 Depth=1
	global_load_dwordx2 v[10:11], v29, s[0:1]
	s_add_i32 s15, s14, -8
.LBB6_908:                              ;   in Loop: Header=BB6_890 Depth=1
	s_add_u32 s0, s10, 8
	s_addc_u32 s1, s11, 0
	s_cmp_gt_u32 s15, 7
	s_cbranch_scc1 .LBB6_912
; %bb.909:                              ;   in Loop: Header=BB6_890 Depth=1
	s_cmp_eq_u32 s15, 0
	s_cbranch_scc1 .LBB6_913
; %bb.910:                              ;   in Loop: Header=BB6_890 Depth=1
	s_mov_b64 s[0:1], 0
	v_mov_b64_e32 v[12:13], 0
	s_mov_b64 s[12:13], 0
.LBB6_911:                              ;   Parent Loop BB6_890 Depth=1
                                        ; =>  This Inner Loop Header: Depth=2
	s_add_u32 s16, s10, s12
	s_addc_u32 s17, s11, s13
	global_load_ubyte v2, v29, s[16:17]
	s_add_u32 s12, s12, 1
	s_addc_u32 s13, s13, 0
	s_waitcnt vmcnt(0)
	v_and_b32_e32 v28, 0xffff, v2
	v_lshlrev_b64 v[2:3], s0, v[28:29]
	s_add_u32 s0, s0, 8
	s_addc_u32 s1, s1, 0
	v_or_b32_e32 v12, v2, v12
	s_cmp_lg_u32 s15, s12
	v_or_b32_e32 v13, v3, v13
	s_cbranch_scc1 .LBB6_911
	s_branch .LBB6_914
.LBB6_912:                              ;   in Loop: Header=BB6_890 Depth=1
	s_mov_b64 s[12:13], -1
	s_branch .LBB6_915
.LBB6_913:                              ;   in Loop: Header=BB6_890 Depth=1
	v_mov_b64_e32 v[12:13], 0
.LBB6_914:                              ;   in Loop: Header=BB6_890 Depth=1
	s_mov_b64 s[12:13], 0
	s_mov_b64 s[0:1], s[10:11]
.LBB6_915:                              ;   in Loop: Header=BB6_890 Depth=1
	s_andn2_b64 vcc, exec, s[12:13]
	s_mov_b32 s14, 0
	s_cbranch_vccnz .LBB6_917
; %bb.916:                              ;   in Loop: Header=BB6_890 Depth=1
	global_load_dwordx2 v[12:13], v29, s[10:11]
	s_add_i32 s14, s15, -8
.LBB6_917:                              ;   in Loop: Header=BB6_890 Depth=1
	s_add_u32 s10, s0, 8
	s_addc_u32 s11, s1, 0
	s_cmp_gt_u32 s14, 7
	s_cbranch_scc1 .LBB6_921
; %bb.918:                              ;   in Loop: Header=BB6_890 Depth=1
	s_cmp_eq_u32 s14, 0
	s_cbranch_scc1 .LBB6_922
; %bb.919:                              ;   in Loop: Header=BB6_890 Depth=1
	s_mov_b64 s[10:11], 0
	v_mov_b64_e32 v[14:15], 0
	s_mov_b64 s[12:13], 0
.LBB6_920:                              ;   Parent Loop BB6_890 Depth=1
                                        ; =>  This Inner Loop Header: Depth=2
	s_add_u32 s16, s0, s12
	s_addc_u32 s17, s1, s13
	global_load_ubyte v2, v29, s[16:17]
	s_add_u32 s12, s12, 1
	s_addc_u32 s13, s13, 0
	s_waitcnt vmcnt(0)
	v_and_b32_e32 v28, 0xffff, v2
	v_lshlrev_b64 v[2:3], s10, v[28:29]
	s_add_u32 s10, s10, 8
	s_addc_u32 s11, s11, 0
	v_or_b32_e32 v14, v2, v14
	s_cmp_lg_u32 s14, s12
	v_or_b32_e32 v15, v3, v15
	s_cbranch_scc1 .LBB6_920
	s_branch .LBB6_923
.LBB6_921:                              ;   in Loop: Header=BB6_890 Depth=1
	s_mov_b64 s[12:13], -1
                                        ; implicit-def: $vgpr14_vgpr15
	s_branch .LBB6_924
.LBB6_922:                              ;   in Loop: Header=BB6_890 Depth=1
	v_mov_b64_e32 v[14:15], 0
.LBB6_923:                              ;   in Loop: Header=BB6_890 Depth=1
	s_mov_b64 s[12:13], 0
	s_mov_b64 s[10:11], s[0:1]
.LBB6_924:                              ;   in Loop: Header=BB6_890 Depth=1
	s_andn2_b64 vcc, exec, s[12:13]
	s_mov_b32 s15, 0
	s_cbranch_vccnz .LBB6_926
; %bb.925:                              ;   in Loop: Header=BB6_890 Depth=1
	global_load_dwordx2 v[14:15], v29, s[0:1]
	s_add_i32 s15, s14, -8
.LBB6_926:                              ;   in Loop: Header=BB6_890 Depth=1
	s_add_u32 s0, s10, 8
	s_addc_u32 s1, s11, 0
	s_cmp_gt_u32 s15, 7
	s_cbranch_scc1 .LBB6_930
; %bb.927:                              ;   in Loop: Header=BB6_890 Depth=1
	s_cmp_eq_u32 s15, 0
	s_cbranch_scc1 .LBB6_931
; %bb.928:                              ;   in Loop: Header=BB6_890 Depth=1
	s_mov_b64 s[0:1], 0
	v_mov_b64_e32 v[16:17], 0
	s_mov_b64 s[12:13], 0
.LBB6_929:                              ;   Parent Loop BB6_890 Depth=1
                                        ; =>  This Inner Loop Header: Depth=2
	s_add_u32 s16, s10, s12
	s_addc_u32 s17, s11, s13
	global_load_ubyte v2, v29, s[16:17]
	s_add_u32 s12, s12, 1
	s_addc_u32 s13, s13, 0
	s_waitcnt vmcnt(0)
	v_and_b32_e32 v28, 0xffff, v2
	v_lshlrev_b64 v[2:3], s0, v[28:29]
	s_add_u32 s0, s0, 8
	s_addc_u32 s1, s1, 0
	v_or_b32_e32 v16, v2, v16
	s_cmp_lg_u32 s15, s12
	v_or_b32_e32 v17, v3, v17
	s_cbranch_scc1 .LBB6_929
	s_branch .LBB6_932
.LBB6_930:                              ;   in Loop: Header=BB6_890 Depth=1
	s_mov_b64 s[12:13], -1
	s_branch .LBB6_933
.LBB6_931:                              ;   in Loop: Header=BB6_890 Depth=1
	v_mov_b64_e32 v[16:17], 0
.LBB6_932:                              ;   in Loop: Header=BB6_890 Depth=1
	s_mov_b64 s[12:13], 0
	s_mov_b64 s[0:1], s[10:11]
.LBB6_933:                              ;   in Loop: Header=BB6_890 Depth=1
	s_andn2_b64 vcc, exec, s[12:13]
	s_mov_b32 s14, 0
	s_cbranch_vccnz .LBB6_935
; %bb.934:                              ;   in Loop: Header=BB6_890 Depth=1
	global_load_dwordx2 v[16:17], v29, s[10:11]
	s_add_i32 s14, s15, -8
.LBB6_935:                              ;   in Loop: Header=BB6_890 Depth=1
	s_add_u32 s10, s0, 8
	s_addc_u32 s11, s1, 0
	s_cmp_gt_u32 s14, 7
	s_cbranch_scc1 .LBB6_939
; %bb.936:                              ;   in Loop: Header=BB6_890 Depth=1
	s_cmp_eq_u32 s14, 0
	s_cbranch_scc1 .LBB6_940
; %bb.937:                              ;   in Loop: Header=BB6_890 Depth=1
	s_mov_b64 s[10:11], 0
	v_mov_b64_e32 v[18:19], 0
	s_mov_b64 s[12:13], 0
.LBB6_938:                              ;   Parent Loop BB6_890 Depth=1
                                        ; =>  This Inner Loop Header: Depth=2
	s_add_u32 s16, s0, s12
	s_addc_u32 s17, s1, s13
	global_load_ubyte v2, v29, s[16:17]
	s_add_u32 s12, s12, 1
	s_addc_u32 s13, s13, 0
	s_waitcnt vmcnt(0)
	v_and_b32_e32 v28, 0xffff, v2
	v_lshlrev_b64 v[2:3], s10, v[28:29]
	s_add_u32 s10, s10, 8
	s_addc_u32 s11, s11, 0
	v_or_b32_e32 v18, v2, v18
	s_cmp_lg_u32 s14, s12
	v_or_b32_e32 v19, v3, v19
	s_cbranch_scc1 .LBB6_938
	s_branch .LBB6_941
.LBB6_939:                              ;   in Loop: Header=BB6_890 Depth=1
	s_mov_b64 s[12:13], -1
                                        ; implicit-def: $vgpr18_vgpr19
	s_branch .LBB6_942
.LBB6_940:                              ;   in Loop: Header=BB6_890 Depth=1
	v_mov_b64_e32 v[18:19], 0
.LBB6_941:                              ;   in Loop: Header=BB6_890 Depth=1
	s_mov_b64 s[12:13], 0
	s_mov_b64 s[10:11], s[0:1]
.LBB6_942:                              ;   in Loop: Header=BB6_890 Depth=1
	s_andn2_b64 vcc, exec, s[12:13]
	s_mov_b32 s15, 0
	s_cbranch_vccnz .LBB6_944
; %bb.943:                              ;   in Loop: Header=BB6_890 Depth=1
	global_load_dwordx2 v[18:19], v29, s[0:1]
	s_add_i32 s15, s14, -8
.LBB6_944:                              ;   in Loop: Header=BB6_890 Depth=1
	s_cmp_gt_u32 s15, 7
	s_cbranch_scc1 .LBB6_948
; %bb.945:                              ;   in Loop: Header=BB6_890 Depth=1
	s_cmp_eq_u32 s15, 0
	s_cbranch_scc1 .LBB6_949
; %bb.946:                              ;   in Loop: Header=BB6_890 Depth=1
	s_mov_b64 s[0:1], 0
	v_mov_b64_e32 v[20:21], 0
	s_mov_b64 s[12:13], s[10:11]
.LBB6_947:                              ;   Parent Loop BB6_890 Depth=1
                                        ; =>  This Inner Loop Header: Depth=2
	global_load_ubyte v2, v29, s[12:13]
	s_add_i32 s15, s15, -1
	s_waitcnt vmcnt(0)
	v_and_b32_e32 v28, 0xffff, v2
	v_lshlrev_b64 v[2:3], s0, v[28:29]
	s_add_u32 s0, s0, 8
	s_addc_u32 s1, s1, 0
	s_add_u32 s12, s12, 1
	s_addc_u32 s13, s13, 0
	v_or_b32_e32 v20, v2, v20
	s_cmp_lg_u32 s15, 0
	v_or_b32_e32 v21, v3, v21
	s_cbranch_scc1 .LBB6_947
	s_branch .LBB6_950
.LBB6_948:                              ;   in Loop: Header=BB6_890 Depth=1
	s_mov_b64 s[0:1], -1
	s_branch .LBB6_951
.LBB6_949:                              ;   in Loop: Header=BB6_890 Depth=1
	v_mov_b64_e32 v[20:21], 0
.LBB6_950:                              ;   in Loop: Header=BB6_890 Depth=1
	s_mov_b64 s[0:1], 0
.LBB6_951:                              ;   in Loop: Header=BB6_890 Depth=1
	s_andn2_b64 vcc, exec, s[0:1]
	s_cbranch_vccnz .LBB6_953
; %bb.952:                              ;   in Loop: Header=BB6_890 Depth=1
	global_load_dwordx2 v[20:21], v29, s[10:11]
.LBB6_953:                              ;   in Loop: Header=BB6_890 Depth=1
	v_readfirstlane_b32 s0, v32
	v_mov_b64_e32 v[2:3], 0
	s_nop 0
	v_cmp_eq_u32_e64 s[0:1], s0, v32
	s_and_saveexec_b64 s[10:11], s[0:1]
	s_cbranch_execz .LBB6_959
; %bb.954:                              ;   in Loop: Header=BB6_890 Depth=1
	global_load_dwordx2 v[24:25], v29, s[2:3] offset:24 sc0 sc1
	s_waitcnt vmcnt(0)
	buffer_inv sc0 sc1
	global_load_dwordx2 v[2:3], v29, s[2:3] offset:40
	global_load_dwordx2 v[22:23], v29, s[2:3]
	s_waitcnt vmcnt(1)
	v_and_b32_e32 v2, v2, v24
	v_and_b32_e32 v3, v3, v25
	v_mul_lo_u32 v3, v3, 24
	v_mul_hi_u32 v27, v2, 24
	v_add_u32_e32 v3, v27, v3
	v_mul_lo_u32 v2, v2, 24
	s_waitcnt vmcnt(0)
	v_lshl_add_u64 v[2:3], v[22:23], 0, v[2:3]
	global_load_dwordx2 v[22:23], v[2:3], off sc0 sc1
	s_waitcnt vmcnt(0)
	global_atomic_cmpswap_x2 v[2:3], v29, v[22:25], s[2:3] offset:24 sc0 sc1
	s_waitcnt vmcnt(0)
	buffer_inv sc0 sc1
	v_cmp_ne_u64_e32 vcc, v[2:3], v[24:25]
	s_and_saveexec_b64 s[12:13], vcc
	s_cbranch_execz .LBB6_958
; %bb.955:                              ;   in Loop: Header=BB6_890 Depth=1
	s_mov_b64 s[14:15], 0
.LBB6_956:                              ;   Parent Loop BB6_890 Depth=1
                                        ; =>  This Inner Loop Header: Depth=2
	s_sleep 1
	global_load_dwordx2 v[22:23], v29, s[2:3] offset:40
	global_load_dwordx2 v[30:31], v29, s[2:3]
	v_mov_b64_e32 v[24:25], v[2:3]
	s_waitcnt vmcnt(1)
	v_and_b32_e32 v2, v22, v24
	s_waitcnt vmcnt(0)
	v_mad_u64_u32 v[2:3], s[16:17], v2, 24, v[30:31]
	v_and_b32_e32 v23, v23, v25
	v_mov_b32_e32 v22, v3
	v_mad_u64_u32 v[22:23], s[16:17], v23, 24, v[22:23]
	v_mov_b32_e32 v3, v22
	global_load_dwordx2 v[22:23], v[2:3], off sc0 sc1
	s_waitcnt vmcnt(0)
	global_atomic_cmpswap_x2 v[2:3], v29, v[22:25], s[2:3] offset:24 sc0 sc1
	s_waitcnt vmcnt(0)
	buffer_inv sc0 sc1
	v_cmp_eq_u64_e32 vcc, v[2:3], v[24:25]
	s_or_b64 s[14:15], vcc, s[14:15]
	s_andn2_b64 exec, exec, s[14:15]
	s_cbranch_execnz .LBB6_956
; %bb.957:                              ;   in Loop: Header=BB6_890 Depth=1
	s_or_b64 exec, exec, s[14:15]
.LBB6_958:                              ;   in Loop: Header=BB6_890 Depth=1
	s_or_b64 exec, exec, s[12:13]
.LBB6_959:                              ;   in Loop: Header=BB6_890 Depth=1
	s_or_b64 exec, exec, s[10:11]
	global_load_dwordx2 v[30:31], v29, s[2:3] offset:40
	global_load_dwordx4 v[22:25], v29, s[2:3]
	v_readfirstlane_b32 s11, v3
	v_readfirstlane_b32 s10, v2
	s_mov_b64 s[12:13], exec
	s_waitcnt vmcnt(1)
	v_readfirstlane_b32 s14, v30
	v_readfirstlane_b32 s15, v31
	s_and_b64 s[14:15], s[14:15], s[10:11]
	s_mul_i32 s16, s15, 24
	s_mul_hi_u32 s17, s14, 24
	s_add_i32 s17, s17, s16
	s_mul_i32 s16, s14, 24
	s_waitcnt vmcnt(0)
	v_lshl_add_u64 v[30:31], v[22:23], 0, s[16:17]
	s_and_saveexec_b64 s[16:17], s[0:1]
	s_cbranch_execz .LBB6_961
; %bb.960:                              ;   in Loop: Header=BB6_890 Depth=1
	v_mov_b64_e32 v[2:3], s[12:13]
	global_store_dwordx4 v[30:31], v[2:5], off offset:8
.LBB6_961:                              ;   in Loop: Header=BB6_890 Depth=1
	s_or_b64 exec, exec, s[16:17]
	s_lshl_b64 s[12:13], s[14:15], 12
	v_lshl_add_u64 v[2:3], v[24:25], 0, s[12:13]
	v_cmp_gt_u64_e64 s[12:13], s[6:7], 56
	s_and_b64 s[12:13], s[12:13], exec
	s_cselect_b32 s12, 0, 2
	s_lshl_b32 s13, s8, 2
	s_add_i32 s13, s13, 28
	v_and_b32_e32 v6, 0xffffff1f, v6
	s_and_b32 s13, s13, 0x1e0
	v_or_b32_e32 v6, s12, v6
	v_or_b32_e32 v6, s13, v6
	v_readfirstlane_b32 s12, v2
	v_readfirstlane_b32 s13, v3
	s_nop 4
	global_store_dwordx4 v26, v[6:9], s[12:13]
	global_store_dwordx4 v26, v[10:13], s[12:13] offset:16
	global_store_dwordx4 v26, v[14:17], s[12:13] offset:32
	;; [unrolled: 1-line block ×3, first 2 shown]
	s_and_saveexec_b64 s[12:13], s[0:1]
	s_cbranch_execz .LBB6_969
; %bb.962:                              ;   in Loop: Header=BB6_890 Depth=1
	global_load_dwordx2 v[14:15], v29, s[2:3] offset:32 sc0 sc1
	global_load_dwordx2 v[6:7], v29, s[2:3] offset:40
	v_mov_b32_e32 v12, s10
	v_mov_b32_e32 v13, s11
	s_waitcnt vmcnt(0)
	v_readfirstlane_b32 s14, v6
	v_readfirstlane_b32 s15, v7
	s_and_b64 s[14:15], s[14:15], s[10:11]
	s_mul_i32 s15, s15, 24
	s_mul_hi_u32 s16, s14, 24
	s_mul_i32 s14, s14, 24
	s_add_i32 s15, s16, s15
	v_lshl_add_u64 v[10:11], v[22:23], 0, s[14:15]
	global_store_dwordx2 v[10:11], v[14:15], off
	buffer_wbl2 sc0 sc1
	s_waitcnt vmcnt(0)
	global_atomic_cmpswap_x2 v[8:9], v29, v[12:15], s[2:3] offset:32 sc0 sc1
	s_waitcnt vmcnt(0)
	v_cmp_ne_u64_e32 vcc, v[8:9], v[14:15]
	s_and_saveexec_b64 s[14:15], vcc
	s_cbranch_execz .LBB6_965
; %bb.963:                              ;   in Loop: Header=BB6_890 Depth=1
	s_mov_b64 s[16:17], 0
.LBB6_964:                              ;   Parent Loop BB6_890 Depth=1
                                        ; =>  This Inner Loop Header: Depth=2
	s_sleep 1
	global_store_dwordx2 v[10:11], v[8:9], off
	v_mov_b32_e32 v6, s10
	v_mov_b32_e32 v7, s11
	buffer_wbl2 sc0 sc1
	s_waitcnt vmcnt(0)
	global_atomic_cmpswap_x2 v[6:7], v29, v[6:9], s[2:3] offset:32 sc0 sc1
	s_waitcnt vmcnt(0)
	v_cmp_eq_u64_e32 vcc, v[6:7], v[8:9]
	s_or_b64 s[16:17], vcc, s[16:17]
	v_mov_b64_e32 v[8:9], v[6:7]
	s_andn2_b64 exec, exec, s[16:17]
	s_cbranch_execnz .LBB6_964
.LBB6_965:                              ;   in Loop: Header=BB6_890 Depth=1
	s_or_b64 exec, exec, s[14:15]
	global_load_dwordx2 v[6:7], v29, s[2:3] offset:16
	s_mov_b64 s[16:17], exec
	v_mbcnt_lo_u32_b32 v8, s16, 0
	v_mbcnt_hi_u32_b32 v8, s17, v8
	v_cmp_eq_u32_e32 vcc, 0, v8
	s_and_saveexec_b64 s[14:15], vcc
	s_cbranch_execz .LBB6_967
; %bb.966:                              ;   in Loop: Header=BB6_890 Depth=1
	s_bcnt1_i32_b64 s16, s[16:17]
	v_mov_b32_e32 v28, s16
	buffer_wbl2 sc0 sc1
	s_waitcnt vmcnt(0)
	global_atomic_add_x2 v[6:7], v[28:29], off offset:8 sc1
.LBB6_967:                              ;   in Loop: Header=BB6_890 Depth=1
	s_or_b64 exec, exec, s[14:15]
	s_waitcnt vmcnt(0)
	global_load_dwordx2 v[8:9], v[6:7], off offset:16
	s_waitcnt vmcnt(0)
	v_cmp_eq_u64_e32 vcc, 0, v[8:9]
	s_cbranch_vccnz .LBB6_969
; %bb.968:                              ;   in Loop: Header=BB6_890 Depth=1
	global_load_dword v28, v[6:7], off offset:24
	s_waitcnt vmcnt(0)
	v_readfirstlane_b32 s14, v28
	s_and_b32 m0, s14, 0xffffff
	buffer_wbl2 sc0 sc1
	global_store_dwordx2 v[8:9], v[28:29], off sc0 sc1
	s_sendmsg sendmsg(MSG_INTERRUPT)
.LBB6_969:                              ;   in Loop: Header=BB6_890 Depth=1
	s_or_b64 exec, exec, s[12:13]
	v_mov_b32_e32 v27, v29
	v_lshl_add_u64 v[2:3], v[2:3], 0, v[26:27]
	s_branch .LBB6_973
.LBB6_970:                              ;   in Loop: Header=BB6_973 Depth=2
	s_or_b64 exec, exec, s[12:13]
	v_readfirstlane_b32 s12, v6
	s_cmp_eq_u32 s12, 0
	s_cbranch_scc1 .LBB6_972
; %bb.971:                              ;   in Loop: Header=BB6_973 Depth=2
	s_sleep 1
	s_cbranch_execnz .LBB6_973
	s_branch .LBB6_975
.LBB6_972:                              ;   in Loop: Header=BB6_890 Depth=1
	s_branch .LBB6_975
.LBB6_973:                              ;   Parent Loop BB6_890 Depth=1
                                        ; =>  This Inner Loop Header: Depth=2
	v_mov_b32_e32 v6, 1
	s_and_saveexec_b64 s[12:13], s[0:1]
	s_cbranch_execz .LBB6_970
; %bb.974:                              ;   in Loop: Header=BB6_973 Depth=2
	global_load_dword v6, v[30:31], off offset:20 sc0 sc1
	s_waitcnt vmcnt(0)
	buffer_inv sc0 sc1
	v_and_b32_e32 v6, 1, v6
	s_branch .LBB6_970
.LBB6_975:                              ;   in Loop: Header=BB6_890 Depth=1
	global_load_dwordx4 v[6:9], v[2:3], off
	s_and_saveexec_b64 s[12:13], s[0:1]
	s_cbranch_execz .LBB6_889
; %bb.976:                              ;   in Loop: Header=BB6_890 Depth=1
	global_load_dwordx2 v[2:3], v29, s[2:3] offset:40
	global_load_dwordx2 v[12:13], v29, s[2:3] offset:24 sc0 sc1
	global_load_dwordx2 v[8:9], v29, s[2:3]
	s_waitcnt vmcnt(2)
	v_readfirstlane_b32 s14, v2
	v_readfirstlane_b32 s15, v3
	s_add_u32 s16, s14, 1
	s_addc_u32 s17, s15, 0
	s_add_u32 s0, s16, s10
	s_addc_u32 s1, s17, s11
	s_cmp_eq_u64 s[0:1], 0
	s_cselect_b32 s1, s17, s1
	s_cselect_b32 s0, s16, s0
	s_and_b64 s[10:11], s[0:1], s[14:15]
	s_mul_i32 s11, s11, 24
	s_mul_hi_u32 s14, s10, 24
	s_mul_i32 s10, s10, 24
	s_add_i32 s11, s14, s11
	s_waitcnt vmcnt(0)
	v_lshl_add_u64 v[2:3], v[8:9], 0, s[10:11]
	v_mov_b32_e32 v10, s0
	global_store_dwordx2 v[2:3], v[12:13], off
	v_mov_b32_e32 v11, s1
	buffer_wbl2 sc0 sc1
	s_waitcnt vmcnt(0)
	global_atomic_cmpswap_x2 v[10:11], v29, v[10:13], s[2:3] offset:24 sc0 sc1
	s_waitcnt vmcnt(0)
	v_cmp_ne_u64_e32 vcc, v[10:11], v[12:13]
	s_and_b64 exec, exec, vcc
	s_cbranch_execz .LBB6_889
; %bb.977:                              ;   in Loop: Header=BB6_890 Depth=1
	s_mov_b64 s[10:11], 0
.LBB6_978:                              ;   Parent Loop BB6_890 Depth=1
                                        ; =>  This Inner Loop Header: Depth=2
	s_sleep 1
	global_store_dwordx2 v[2:3], v[10:11], off
	v_mov_b32_e32 v8, s0
	v_mov_b32_e32 v9, s1
	buffer_wbl2 sc0 sc1
	s_waitcnt vmcnt(0)
	global_atomic_cmpswap_x2 v[8:9], v29, v[8:11], s[2:3] offset:24 sc0 sc1
	s_waitcnt vmcnt(0)
	v_cmp_eq_u64_e32 vcc, v[8:9], v[10:11]
	s_or_b64 s[10:11], vcc, s[10:11]
	v_mov_b64_e32 v[10:11], v[8:9]
	s_andn2_b64 exec, exec, s[10:11]
	s_cbranch_execnz .LBB6_978
	s_branch .LBB6_889
.LBB6_979:
	s_mov_b64 s[0:1], 0
	s_branch .LBB6_981
.LBB6_980:
	s_mov_b64 s[0:1], -1
.LBB6_981:
	s_and_b64 vcc, exec, s[0:1]
	s_cbranch_vccz .LBB6_1008
; %bb.982:
	v_readfirstlane_b32 s0, v32
	s_waitcnt vmcnt(0)
	v_mov_b64_e32 v[8:9], 0
	v_cmp_eq_u32_e64 s[0:1], s0, v32
	s_and_saveexec_b64 s[4:5], s[0:1]
	s_cbranch_execz .LBB6_988
; %bb.983:
	v_mov_b32_e32 v2, 0
	global_load_dwordx2 v[6:7], v2, s[2:3] offset:24 sc0 sc1
	s_waitcnt vmcnt(0)
	buffer_inv sc0 sc1
	global_load_dwordx2 v[4:5], v2, s[2:3] offset:40
	global_load_dwordx2 v[8:9], v2, s[2:3]
	s_waitcnt vmcnt(1)
	v_and_b32_e32 v3, v4, v6
	v_and_b32_e32 v4, v5, v7
	v_mul_lo_u32 v4, v4, 24
	v_mul_hi_u32 v5, v3, 24
	v_add_u32_e32 v5, v5, v4
	v_mul_lo_u32 v4, v3, 24
	s_waitcnt vmcnt(0)
	v_lshl_add_u64 v[4:5], v[8:9], 0, v[4:5]
	global_load_dwordx2 v[4:5], v[4:5], off sc0 sc1
	s_waitcnt vmcnt(0)
	global_atomic_cmpswap_x2 v[8:9], v2, v[4:7], s[2:3] offset:24 sc0 sc1
	s_waitcnt vmcnt(0)
	buffer_inv sc0 sc1
	v_cmp_ne_u64_e32 vcc, v[8:9], v[6:7]
	s_and_saveexec_b64 s[6:7], vcc
	s_cbranch_execz .LBB6_987
; %bb.984:
	s_mov_b64 s[8:9], 0
.LBB6_985:                              ; =>This Inner Loop Header: Depth=1
	s_sleep 1
	global_load_dwordx2 v[4:5], v2, s[2:3] offset:40
	global_load_dwordx2 v[10:11], v2, s[2:3]
	v_mov_b64_e32 v[6:7], v[8:9]
	s_waitcnt vmcnt(1)
	v_and_b32_e32 v4, v4, v6
	v_and_b32_e32 v3, v5, v7
	s_waitcnt vmcnt(0)
	v_mad_u64_u32 v[4:5], s[10:11], v4, 24, v[10:11]
	v_mov_b32_e32 v8, v5
	v_mad_u64_u32 v[8:9], s[10:11], v3, 24, v[8:9]
	v_mov_b32_e32 v5, v8
	global_load_dwordx2 v[4:5], v[4:5], off sc0 sc1
	s_waitcnt vmcnt(0)
	global_atomic_cmpswap_x2 v[8:9], v2, v[4:7], s[2:3] offset:24 sc0 sc1
	s_waitcnt vmcnt(0)
	buffer_inv sc0 sc1
	v_cmp_eq_u64_e32 vcc, v[8:9], v[6:7]
	s_or_b64 s[8:9], vcc, s[8:9]
	s_andn2_b64 exec, exec, s[8:9]
	s_cbranch_execnz .LBB6_985
; %bb.986:
	s_or_b64 exec, exec, s[8:9]
.LBB6_987:
	s_or_b64 exec, exec, s[6:7]
.LBB6_988:
	s_or_b64 exec, exec, s[4:5]
	v_mov_b32_e32 v2, 0
	global_load_dwordx2 v[10:11], v2, s[2:3] offset:40
	global_load_dwordx4 v[4:7], v2, s[2:3]
	v_readfirstlane_b32 s5, v9
	v_readfirstlane_b32 s4, v8
	s_mov_b64 s[6:7], exec
	s_waitcnt vmcnt(1)
	v_readfirstlane_b32 s8, v10
	v_readfirstlane_b32 s9, v11
	s_and_b64 s[8:9], s[8:9], s[4:5]
	s_mul_i32 s10, s9, 24
	s_mul_hi_u32 s11, s8, 24
	s_add_i32 s11, s11, s10
	s_mul_i32 s10, s8, 24
	s_waitcnt vmcnt(0)
	v_lshl_add_u64 v[8:9], v[4:5], 0, s[10:11]
	s_and_saveexec_b64 s[10:11], s[0:1]
	s_cbranch_execz .LBB6_990
; %bb.989:
	v_mov_b64_e32 v[10:11], s[6:7]
	v_mov_b32_e32 v12, 2
	v_mov_b32_e32 v13, 1
	global_store_dwordx4 v[8:9], v[10:13], off offset:8
.LBB6_990:
	s_or_b64 exec, exec, s[10:11]
	s_lshl_b64 s[6:7], s[8:9], 12
	v_lshl_add_u64 v[6:7], v[6:7], 0, s[6:7]
	s_movk_i32 s6, 0xff1d
	s_mov_b32 s8, 0
	v_and_or_b32 v0, v0, s6, 34
	v_mov_b32_e32 v3, v2
	v_readfirstlane_b32 s6, v6
	v_readfirstlane_b32 s7, v7
	s_mov_b32 s9, s8
	s_mov_b32 s10, s8
	;; [unrolled: 1-line block ×3, first 2 shown]
	s_nop 1
	global_store_dwordx4 v26, v[0:3], s[6:7]
	s_nop 1
	v_mov_b64_e32 v[0:1], s[8:9]
	v_mov_b64_e32 v[2:3], s[10:11]
	global_store_dwordx4 v26, v[0:3], s[6:7] offset:16
	global_store_dwordx4 v26, v[0:3], s[6:7] offset:32
	;; [unrolled: 1-line block ×3, first 2 shown]
	s_and_saveexec_b64 s[6:7], s[0:1]
	s_cbranch_execz .LBB6_998
; %bb.991:
	v_mov_b32_e32 v6, 0
	global_load_dwordx2 v[12:13], v6, s[2:3] offset:32 sc0 sc1
	global_load_dwordx2 v[0:1], v6, s[2:3] offset:40
	v_mov_b32_e32 v10, s4
	v_mov_b32_e32 v11, s5
	s_waitcnt vmcnt(0)
	v_readfirstlane_b32 s8, v0
	v_readfirstlane_b32 s9, v1
	s_and_b64 s[8:9], s[8:9], s[4:5]
	s_mul_i32 s9, s9, 24
	s_mul_hi_u32 s10, s8, 24
	s_mul_i32 s8, s8, 24
	s_add_i32 s9, s10, s9
	v_lshl_add_u64 v[4:5], v[4:5], 0, s[8:9]
	global_store_dwordx2 v[4:5], v[12:13], off
	buffer_wbl2 sc0 sc1
	s_waitcnt vmcnt(0)
	global_atomic_cmpswap_x2 v[2:3], v6, v[10:13], s[2:3] offset:32 sc0 sc1
	s_waitcnt vmcnt(0)
	v_cmp_ne_u64_e32 vcc, v[2:3], v[12:13]
	s_and_saveexec_b64 s[8:9], vcc
	s_cbranch_execz .LBB6_994
; %bb.992:
	s_mov_b64 s[10:11], 0
.LBB6_993:                              ; =>This Inner Loop Header: Depth=1
	s_sleep 1
	global_store_dwordx2 v[4:5], v[2:3], off
	v_mov_b32_e32 v0, s4
	v_mov_b32_e32 v1, s5
	buffer_wbl2 sc0 sc1
	s_waitcnt vmcnt(0)
	global_atomic_cmpswap_x2 v[0:1], v6, v[0:3], s[2:3] offset:32 sc0 sc1
	s_waitcnt vmcnt(0)
	v_cmp_eq_u64_e32 vcc, v[0:1], v[2:3]
	s_or_b64 s[10:11], vcc, s[10:11]
	v_mov_b64_e32 v[2:3], v[0:1]
	s_andn2_b64 exec, exec, s[10:11]
	s_cbranch_execnz .LBB6_993
.LBB6_994:
	s_or_b64 exec, exec, s[8:9]
	v_mov_b32_e32 v3, 0
	global_load_dwordx2 v[0:1], v3, s[2:3] offset:16
	s_mov_b64 s[8:9], exec
	v_mbcnt_lo_u32_b32 v2, s8, 0
	v_mbcnt_hi_u32_b32 v2, s9, v2
	v_cmp_eq_u32_e32 vcc, 0, v2
	s_and_saveexec_b64 s[10:11], vcc
	s_cbranch_execz .LBB6_996
; %bb.995:
	s_bcnt1_i32_b64 s8, s[8:9]
	v_mov_b32_e32 v2, s8
	buffer_wbl2 sc0 sc1
	s_waitcnt vmcnt(0)
	global_atomic_add_x2 v[0:1], v[2:3], off offset:8 sc1
.LBB6_996:
	s_or_b64 exec, exec, s[10:11]
	s_waitcnt vmcnt(0)
	global_load_dwordx2 v[2:3], v[0:1], off offset:16
	s_waitcnt vmcnt(0)
	v_cmp_eq_u64_e32 vcc, 0, v[2:3]
	s_cbranch_vccnz .LBB6_998
; %bb.997:
	global_load_dword v0, v[0:1], off offset:24
	v_mov_b32_e32 v1, 0
	s_waitcnt vmcnt(0)
	v_readfirstlane_b32 s8, v0
	s_and_b32 m0, s8, 0xffffff
	buffer_wbl2 sc0 sc1
	global_store_dwordx2 v[2:3], v[0:1], off sc0 sc1
	s_sendmsg sendmsg(MSG_INTERRUPT)
.LBB6_998:
	s_or_b64 exec, exec, s[6:7]
	s_branch .LBB6_1002
.LBB6_999:                              ;   in Loop: Header=BB6_1002 Depth=1
	s_or_b64 exec, exec, s[6:7]
	v_readfirstlane_b32 s6, v0
	s_cmp_eq_u32 s6, 0
	s_cbranch_scc1 .LBB6_1001
; %bb.1000:                             ;   in Loop: Header=BB6_1002 Depth=1
	s_sleep 1
	s_cbranch_execnz .LBB6_1002
	s_branch .LBB6_1004
.LBB6_1001:
	s_branch .LBB6_1004
.LBB6_1002:                             ; =>This Inner Loop Header: Depth=1
	v_mov_b32_e32 v0, 1
	s_and_saveexec_b64 s[6:7], s[0:1]
	s_cbranch_execz .LBB6_999
; %bb.1003:                             ;   in Loop: Header=BB6_1002 Depth=1
	global_load_dword v0, v[8:9], off offset:20 sc0 sc1
	s_waitcnt vmcnt(0)
	buffer_inv sc0 sc1
	v_and_b32_e32 v0, 1, v0
	s_branch .LBB6_999
.LBB6_1004:
	s_and_saveexec_b64 s[6:7], s[0:1]
	s_cbranch_execz .LBB6_1007
; %bb.1005:
	v_mov_b32_e32 v6, 0
	global_load_dwordx2 v[0:1], v6, s[2:3] offset:40
	global_load_dwordx2 v[10:11], v6, s[2:3] offset:24 sc0 sc1
	global_load_dwordx2 v[2:3], v6, s[2:3]
	s_waitcnt vmcnt(2)
	v_readfirstlane_b32 s8, v0
	v_readfirstlane_b32 s9, v1
	s_add_u32 s10, s8, 1
	s_addc_u32 s11, s9, 0
	s_add_u32 s0, s10, s4
	s_addc_u32 s1, s11, s5
	s_cmp_eq_u64 s[0:1], 0
	s_cselect_b32 s1, s11, s1
	s_cselect_b32 s0, s10, s0
	s_and_b64 s[4:5], s[0:1], s[8:9]
	s_mul_i32 s5, s5, 24
	s_mul_hi_u32 s8, s4, 24
	s_mul_i32 s4, s4, 24
	s_add_i32 s5, s8, s5
	s_waitcnt vmcnt(0)
	v_lshl_add_u64 v[4:5], v[2:3], 0, s[4:5]
	v_mov_b32_e32 v8, s0
	global_store_dwordx2 v[4:5], v[10:11], off
	v_mov_b32_e32 v9, s1
	buffer_wbl2 sc0 sc1
	s_waitcnt vmcnt(0)
	global_atomic_cmpswap_x2 v[2:3], v6, v[8:11], s[2:3] offset:24 sc0 sc1
	s_mov_b64 s[4:5], 0
	s_waitcnt vmcnt(0)
	v_cmp_ne_u64_e32 vcc, v[2:3], v[10:11]
	s_and_b64 exec, exec, vcc
	s_cbranch_execz .LBB6_1007
.LBB6_1006:                             ; =>This Inner Loop Header: Depth=1
	s_sleep 1
	global_store_dwordx2 v[4:5], v[2:3], off
	v_mov_b32_e32 v0, s0
	v_mov_b32_e32 v1, s1
	buffer_wbl2 sc0 sc1
	s_waitcnt vmcnt(0)
	global_atomic_cmpswap_x2 v[0:1], v6, v[0:3], s[2:3] offset:24 sc0 sc1
	s_waitcnt vmcnt(0)
	v_cmp_eq_u64_e32 vcc, v[0:1], v[2:3]
	s_or_b64 s[4:5], vcc, s[4:5]
	v_mov_b64_e32 v[2:3], v[0:1]
	s_andn2_b64 exec, exec, s[4:5]
	s_cbranch_execnz .LBB6_1006
.LBB6_1007:
	s_or_b64 exec, exec, s[6:7]
.LBB6_1008:
	s_getpc_b64 s[0:1]
	s_add_u32 s0, s0, .str.29@rel32@lo+4
	s_addc_u32 s1, s1, .str.29@rel32@hi+12
	s_getpc_b64 s[2:3]
	s_add_u32 s2, s2, .str.19@rel32@lo+4
	s_addc_u32 s3, s3, .str.19@rel32@hi+12
	s_getpc_b64 s[4:5]
	s_add_u32 s4, s4, __PRETTY_FUNCTION__._ZN7VecsMemIjLi8192EE5fetchEi@rel32@lo+4
	s_addc_u32 s5, s5, __PRETTY_FUNCTION__._ZN7VecsMemIjLi8192EE5fetchEi@rel32@hi+12
	s_getpc_b64 s[6:7]
	s_add_u32 s6, s6, __assert_fail@rel32@lo+4
	s_addc_u32 s7, s7, __assert_fail@rel32@hi+12
	s_mov_b64 s[8:9], s[64:65]
	s_waitcnt vmcnt(0)
	v_mov_b32_e32 v0, s0
	v_mov_b32_e32 v1, s1
	v_mov_b32_e32 v2, s2
	v_mov_b32_e32 v3, s3
	v_mov_b32_e32 v4, 12
	v_mov_b32_e32 v5, s4
	v_mov_b32_e32 v6, s5
	s_swappc_b64 s[30:31], s[6:7]
	v_readlane_b32 s0, v47, 6
	v_readlane_b32 s1, v47, 7
	s_or_b64 s[0:1], s[0:1], exec
.LBB6_1009:
	s_or_b64 exec, exec, s[28:29]
	v_readlane_b32 s2, v47, 6
	v_readlane_b32 s3, v47, 7
	s_andn2_b64 s[2:3], s[2:3], exec
	s_and_b64 s[0:1], s[0:1], exec
	s_or_b64 s[84:85], s[2:3], s[0:1]
	s_orn2_b64 s[0:1], s[26:27], exec
.LBB6_1010:
	s_or_b64 exec, exec, s[24:25]
	s_mov_b64 s[2:3], 0
                                        ; implicit-def: $vgpr41
	s_mov_b64 s[4:5], exec
	v_writelane_b32 v47, s4, 46
	s_and_b64 s[0:1], s[4:5], s[0:1]
	s_nop 0
	v_writelane_b32 v47, s5, 47
	s_mov_b64 exec, s[0:1]
	s_cbranch_execz .LBB6_1391
; %bb.1011:
	v_mov_b32_e32 v0, 0
	s_mov_b64 s[0:1], -1
	v_mov_b64_e32 v[80:81], 0
	s_mov_b64 s[96:97], s[84:85]
	scratch_store_dwordx2 off, v[68:69], s33 offset:48
	scratch_store_dword off, v0, s33 offset:60
	s_and_saveexec_b64 s[24:25], s[22:23]
	s_cbranch_execz .LBB6_1163
; %bb.1012:
	flat_load_dword v0, v[58:59]
	s_movk_i32 s0, 0x2001
	s_mov_b64 s[22:23], 0
	v_mov_b64_e32 v[80:81], 0
	s_waitcnt vmcnt(0) lgkmcnt(0)
	v_add_u32_e32 v0, v0, v70
	v_cmp_gt_i32_e32 vcc, s0, v0
	s_and_saveexec_b64 s[0:1], vcc
	s_xor_b64 s[0:1], exec, s[0:1]
	s_cbranch_execz .LBB6_1014
; %bb.1013:
	v_ashrrev_i32_e32 v1, 31, v0
	v_mov_b32_e32 v71, 0
	flat_store_dword v[58:59], v0
	v_lshl_add_u64 v[0:1], v[0:1], 2, v[58:59]
	v_lshlrev_b64 v[2:3], 2, v[70:71]
	v_sub_co_u32_e32 v0, vcc, v0, v2
	s_mov_b64 s[22:23], exec
	s_nop 0
	v_subb_co_u32_e32 v1, vcc, v1, v3, vcc
	v_lshl_add_u64 v[80:81], v[0:1], 0, 4
.LBB6_1014:
	s_or_saveexec_b64 s[26:27], s[0:1]
	s_mov_b64 s[0:1], s[84:85]
	s_xor_b64 exec, exec, s[26:27]
	s_cbranch_execz .LBB6_1162
; %bb.1015:
	s_load_dwordx2 s[2:3], s[64:65], 0x50
	v_mbcnt_lo_u32_b32 v0, -1, 0
	v_mbcnt_hi_u32_b32 v32, -1, v0
	v_mov_b64_e32 v[4:5], 0
	v_readfirstlane_b32 s0, v32
	s_nop 1
	v_cmp_eq_u32_e64 s[0:1], s0, v32
	s_and_saveexec_b64 s[4:5], s[0:1]
	s_cbranch_execz .LBB6_1021
; %bb.1016:
	v_mov_b32_e32 v0, 0
	s_waitcnt lgkmcnt(0)
	global_load_dwordx2 v[6:7], v0, s[2:3] offset:24 sc0 sc1
	s_waitcnt vmcnt(0)
	buffer_inv sc0 sc1
	global_load_dwordx2 v[2:3], v0, s[2:3] offset:40
	global_load_dwordx2 v[4:5], v0, s[2:3]
	s_waitcnt vmcnt(1)
	v_and_b32_e32 v1, v2, v6
	v_and_b32_e32 v2, v3, v7
	v_mul_lo_u32 v2, v2, 24
	v_mul_hi_u32 v3, v1, 24
	v_add_u32_e32 v3, v3, v2
	v_mul_lo_u32 v2, v1, 24
	s_waitcnt vmcnt(0)
	v_lshl_add_u64 v[2:3], v[4:5], 0, v[2:3]
	global_load_dwordx2 v[4:5], v[2:3], off sc0 sc1
	s_waitcnt vmcnt(0)
	global_atomic_cmpswap_x2 v[4:5], v0, v[4:7], s[2:3] offset:24 sc0 sc1
	s_waitcnt vmcnt(0)
	buffer_inv sc0 sc1
	v_cmp_ne_u64_e32 vcc, v[4:5], v[6:7]
	s_and_saveexec_b64 s[6:7], vcc
	s_cbranch_execz .LBB6_1020
; %bb.1017:
	s_mov_b64 s[8:9], 0
.LBB6_1018:                             ; =>This Inner Loop Header: Depth=1
	s_sleep 1
	global_load_dwordx2 v[2:3], v0, s[2:3] offset:40
	global_load_dwordx2 v[8:9], v0, s[2:3]
	v_mov_b64_e32 v[6:7], v[4:5]
	s_waitcnt vmcnt(1)
	v_and_b32_e32 v2, v2, v6
	v_and_b32_e32 v1, v3, v7
	s_waitcnt vmcnt(0)
	v_mad_u64_u32 v[2:3], s[10:11], v2, 24, v[8:9]
	v_mov_b32_e32 v4, v3
	v_mad_u64_u32 v[4:5], s[10:11], v1, 24, v[4:5]
	v_mov_b32_e32 v3, v4
	global_load_dwordx2 v[4:5], v[2:3], off sc0 sc1
	s_waitcnt vmcnt(0)
	global_atomic_cmpswap_x2 v[4:5], v0, v[4:7], s[2:3] offset:24 sc0 sc1
	s_waitcnt vmcnt(0)
	buffer_inv sc0 sc1
	v_cmp_eq_u64_e32 vcc, v[4:5], v[6:7]
	s_or_b64 s[8:9], vcc, s[8:9]
	s_andn2_b64 exec, exec, s[8:9]
	s_cbranch_execnz .LBB6_1018
; %bb.1019:
	s_or_b64 exec, exec, s[8:9]
.LBB6_1020:
	s_or_b64 exec, exec, s[6:7]
.LBB6_1021:
	s_or_b64 exec, exec, s[4:5]
	v_mov_b32_e32 v27, 0
	s_waitcnt lgkmcnt(0)
	global_load_dwordx2 v[6:7], v27, s[2:3] offset:40
	global_load_dwordx4 v[0:3], v27, s[2:3]
	v_readfirstlane_b32 s5, v5
	v_readfirstlane_b32 s4, v4
	s_mov_b64 s[6:7], exec
	s_waitcnt vmcnt(0)
	v_readfirstlane_b32 s8, v6
	v_readfirstlane_b32 s9, v7
	s_and_b64 s[8:9], s[8:9], s[4:5]
	s_mul_i32 s10, s9, 24
	s_mul_hi_u32 s11, s8, 24
	s_add_i32 s11, s11, s10
	s_mul_i32 s10, s8, 24
	v_lshl_add_u64 v[4:5], v[0:1], 0, s[10:11]
	s_and_saveexec_b64 s[10:11], s[0:1]
	s_cbranch_execz .LBB6_1023
; %bb.1022:
	v_mov_b64_e32 v[6:7], s[6:7]
	v_mov_b32_e32 v8, 2
	v_mov_b32_e32 v9, 1
	global_store_dwordx4 v[4:5], v[6:9], off offset:8
.LBB6_1023:
	s_or_b64 exec, exec, s[10:11]
	s_lshl_b64 s[6:7], s[8:9], 12
	v_lshl_add_u64 v[6:7], v[2:3], 0, s[6:7]
	s_mov_b32 s8, 0
	v_lshlrev_b32_e32 v26, 6, v32
	v_mov_b32_e32 v8, 33
	v_mov_b32_e32 v9, v27
	;; [unrolled: 1-line block ×4, first 2 shown]
	v_readfirstlane_b32 s6, v6
	v_readfirstlane_b32 s7, v7
	s_mov_b32 s9, s8
	s_mov_b32 s10, s8
	;; [unrolled: 1-line block ×3, first 2 shown]
	s_nop 1
	global_store_dwordx4 v26, v[8:11], s[6:7]
	s_nop 1
	v_mov_b64_e32 v[8:9], s[8:9]
	v_mov_b64_e32 v[10:11], s[10:11]
	global_store_dwordx4 v26, v[8:11], s[6:7] offset:16
	global_store_dwordx4 v26, v[8:11], s[6:7] offset:32
	;; [unrolled: 1-line block ×3, first 2 shown]
	s_and_saveexec_b64 s[6:7], s[0:1]
	s_cbranch_execz .LBB6_1031
; %bb.1024:
	v_mov_b32_e32 v10, 0
	global_load_dwordx2 v[14:15], v10, s[2:3] offset:32 sc0 sc1
	global_load_dwordx2 v[2:3], v10, s[2:3] offset:40
	v_mov_b32_e32 v12, s4
	v_mov_b32_e32 v13, s5
	s_waitcnt vmcnt(0)
	v_and_b32_e32 v2, s4, v2
	v_and_b32_e32 v3, s5, v3
	v_mul_lo_u32 v3, v3, 24
	v_mul_hi_u32 v8, v2, 24
	v_mul_lo_u32 v2, v2, 24
	v_add_u32_e32 v3, v8, v3
	v_lshl_add_u64 v[8:9], v[0:1], 0, v[2:3]
	global_store_dwordx2 v[8:9], v[14:15], off
	buffer_wbl2 sc0 sc1
	s_waitcnt vmcnt(0)
	global_atomic_cmpswap_x2 v[2:3], v10, v[12:15], s[2:3] offset:32 sc0 sc1
	s_waitcnt vmcnt(0)
	v_cmp_ne_u64_e32 vcc, v[2:3], v[14:15]
	s_and_saveexec_b64 s[8:9], vcc
	s_cbranch_execz .LBB6_1027
; %bb.1025:
	s_mov_b64 s[10:11], 0
.LBB6_1026:                             ; =>This Inner Loop Header: Depth=1
	s_sleep 1
	global_store_dwordx2 v[8:9], v[2:3], off
	v_mov_b32_e32 v0, s4
	v_mov_b32_e32 v1, s5
	buffer_wbl2 sc0 sc1
	s_waitcnt vmcnt(0)
	global_atomic_cmpswap_x2 v[0:1], v10, v[0:3], s[2:3] offset:32 sc0 sc1
	s_waitcnt vmcnt(0)
	v_cmp_eq_u64_e32 vcc, v[0:1], v[2:3]
	s_or_b64 s[10:11], vcc, s[10:11]
	v_mov_b64_e32 v[2:3], v[0:1]
	s_andn2_b64 exec, exec, s[10:11]
	s_cbranch_execnz .LBB6_1026
.LBB6_1027:
	s_or_b64 exec, exec, s[8:9]
	v_mov_b32_e32 v3, 0
	global_load_dwordx2 v[0:1], v3, s[2:3] offset:16
	s_mov_b64 s[8:9], exec
	v_mbcnt_lo_u32_b32 v2, s8, 0
	v_mbcnt_hi_u32_b32 v2, s9, v2
	v_cmp_eq_u32_e32 vcc, 0, v2
	s_and_saveexec_b64 s[10:11], vcc
	s_cbranch_execz .LBB6_1029
; %bb.1028:
	s_bcnt1_i32_b64 s8, s[8:9]
	v_mov_b32_e32 v2, s8
	buffer_wbl2 sc0 sc1
	s_waitcnt vmcnt(0)
	global_atomic_add_x2 v[0:1], v[2:3], off offset:8 sc1
.LBB6_1029:
	s_or_b64 exec, exec, s[10:11]
	s_waitcnt vmcnt(0)
	global_load_dwordx2 v[2:3], v[0:1], off offset:16
	s_waitcnt vmcnt(0)
	v_cmp_eq_u64_e32 vcc, 0, v[2:3]
	s_cbranch_vccnz .LBB6_1031
; %bb.1030:
	global_load_dword v0, v[0:1], off offset:24
	v_mov_b32_e32 v1, 0
	s_waitcnt vmcnt(0)
	v_readfirstlane_b32 s8, v0
	s_and_b32 m0, s8, 0xffffff
	buffer_wbl2 sc0 sc1
	global_store_dwordx2 v[2:3], v[0:1], off sc0 sc1
	s_sendmsg sendmsg(MSG_INTERRUPT)
.LBB6_1031:
	s_or_b64 exec, exec, s[6:7]
	v_lshl_add_u64 v[0:1], v[6:7], 0, v[26:27]
	s_branch .LBB6_1035
.LBB6_1032:                             ;   in Loop: Header=BB6_1035 Depth=1
	s_or_b64 exec, exec, s[6:7]
	v_readfirstlane_b32 s6, v2
	s_cmp_eq_u32 s6, 0
	s_cbranch_scc1 .LBB6_1034
; %bb.1033:                             ;   in Loop: Header=BB6_1035 Depth=1
	s_sleep 1
	s_cbranch_execnz .LBB6_1035
	s_branch .LBB6_1037
.LBB6_1034:
	s_branch .LBB6_1037
.LBB6_1035:                             ; =>This Inner Loop Header: Depth=1
	v_mov_b32_e32 v2, 1
	s_and_saveexec_b64 s[6:7], s[0:1]
	s_cbranch_execz .LBB6_1032
; %bb.1036:                             ;   in Loop: Header=BB6_1035 Depth=1
	global_load_dword v2, v[4:5], off offset:20 sc0 sc1
	s_waitcnt vmcnt(0)
	buffer_inv sc0 sc1
	v_and_b32_e32 v2, 1, v2
	s_branch .LBB6_1032
.LBB6_1037:
	global_load_dwordx2 v[0:1], v[0:1], off
	s_and_saveexec_b64 s[6:7], s[0:1]
	s_cbranch_execz .LBB6_1040
; %bb.1038:
	v_mov_b32_e32 v8, 0
	global_load_dwordx2 v[2:3], v8, s[2:3] offset:40
	global_load_dwordx2 v[12:13], v8, s[2:3] offset:24 sc0 sc1
	global_load_dwordx2 v[4:5], v8, s[2:3]
	s_waitcnt vmcnt(2)
	v_readfirstlane_b32 s8, v2
	v_readfirstlane_b32 s9, v3
	s_add_u32 s10, s8, 1
	s_addc_u32 s11, s9, 0
	s_add_u32 s0, s10, s4
	s_addc_u32 s1, s11, s5
	s_cmp_eq_u64 s[0:1], 0
	s_cselect_b32 s1, s11, s1
	s_cselect_b32 s0, s10, s0
	s_and_b64 s[4:5], s[0:1], s[8:9]
	s_mul_i32 s5, s5, 24
	s_mul_hi_u32 s8, s4, 24
	s_mul_i32 s4, s4, 24
	s_add_i32 s5, s8, s5
	s_waitcnt vmcnt(0)
	v_lshl_add_u64 v[6:7], v[4:5], 0, s[4:5]
	v_mov_b32_e32 v10, s0
	global_store_dwordx2 v[6:7], v[12:13], off
	v_mov_b32_e32 v11, s1
	buffer_wbl2 sc0 sc1
	s_waitcnt vmcnt(0)
	global_atomic_cmpswap_x2 v[4:5], v8, v[10:13], s[2:3] offset:24 sc0 sc1
	s_mov_b64 s[4:5], 0
	s_waitcnt vmcnt(0)
	v_cmp_ne_u64_e32 vcc, v[4:5], v[12:13]
	s_and_b64 exec, exec, vcc
	s_cbranch_execz .LBB6_1040
.LBB6_1039:                             ; =>This Inner Loop Header: Depth=1
	s_sleep 1
	global_store_dwordx2 v[6:7], v[4:5], off
	v_mov_b32_e32 v2, s0
	v_mov_b32_e32 v3, s1
	buffer_wbl2 sc0 sc1
	s_waitcnt vmcnt(0)
	global_atomic_cmpswap_x2 v[2:3], v8, v[2:5], s[2:3] offset:24 sc0 sc1
	s_waitcnt vmcnt(0)
	v_cmp_eq_u64_e32 vcc, v[2:3], v[4:5]
	s_or_b64 s[4:5], vcc, s[4:5]
	v_mov_b64_e32 v[4:5], v[2:3]
	s_andn2_b64 exec, exec, s[4:5]
	s_cbranch_execnz .LBB6_1039
.LBB6_1040:
	s_or_b64 exec, exec, s[6:7]
	s_getpc_b64 s[4:5]
	s_add_u32 s4, s4, .str.28@rel32@lo+4
	s_addc_u32 s5, s5, .str.28@rel32@hi+12
	s_cmp_lg_u64 s[4:5], 0
	s_cbranch_scc0 .LBB6_1133
; %bb.1041:
	s_waitcnt vmcnt(0)
	v_and_b32_e32 v6, -3, v0
	v_mov_b32_e32 v7, v1
	s_mov_b64 s[6:7], 35
	v_mov_b32_e32 v29, 0
	v_mov_b32_e32 v4, 2
	;; [unrolled: 1-line block ×3, first 2 shown]
	s_branch .LBB6_1043
.LBB6_1042:                             ;   in Loop: Header=BB6_1043 Depth=1
	s_or_b64 exec, exec, s[12:13]
	s_sub_u32 s6, s6, s8
	s_subb_u32 s7, s7, s9
	s_add_u32 s4, s4, s8
	s_addc_u32 s5, s5, s9
	s_cmp_lg_u64 s[6:7], 0
	s_cbranch_scc0 .LBB6_1132
.LBB6_1043:                             ; =>This Loop Header: Depth=1
                                        ;     Child Loop BB6_1046 Depth 2
                                        ;     Child Loop BB6_1055 Depth 2
	;; [unrolled: 1-line block ×11, first 2 shown]
	v_cmp_lt_u64_e64 s[0:1], s[6:7], 56
	s_and_b64 s[0:1], s[0:1], exec
	s_cselect_b32 s9, s7, 0
	s_cselect_b32 s8, s6, 56
	v_cmp_gt_u64_e64 s[10:11], s[6:7], 7
	s_add_u32 s0, s4, 8
	s_addc_u32 s1, s5, 0
	s_and_b64 vcc, exec, s[10:11]
	s_cbranch_vccnz .LBB6_1047
; %bb.1044:                             ;   in Loop: Header=BB6_1043 Depth=1
	s_cmp_eq_u64 s[6:7], 0
	s_cbranch_scc1 .LBB6_1048
; %bb.1045:                             ;   in Loop: Header=BB6_1043 Depth=1
	s_lshl_b64 s[0:1], s[8:9], 3
	s_mov_b64 s[10:11], 0
	s_waitcnt vmcnt(0)
	v_mov_b64_e32 v[8:9], 0
	s_mov_b64 s[12:13], s[4:5]
.LBB6_1046:                             ;   Parent Loop BB6_1043 Depth=1
                                        ; =>  This Inner Loop Header: Depth=2
	global_load_ubyte v2, v29, s[12:13]
	s_waitcnt vmcnt(0)
	v_and_b32_e32 v28, 0xffff, v2
	v_lshlrev_b64 v[2:3], s10, v[28:29]
	s_add_u32 s10, s10, 8
	s_addc_u32 s11, s11, 0
	s_add_u32 s12, s12, 1
	s_addc_u32 s13, s13, 0
	v_or_b32_e32 v8, v2, v8
	s_cmp_lg_u32 s0, s10
	v_or_b32_e32 v9, v3, v9
	s_cbranch_scc1 .LBB6_1046
	s_branch .LBB6_1049
.LBB6_1047:                             ;   in Loop: Header=BB6_1043 Depth=1
	s_mov_b64 s[10:11], -1
	s_branch .LBB6_1050
.LBB6_1048:                             ;   in Loop: Header=BB6_1043 Depth=1
	s_waitcnt vmcnt(0)
	v_mov_b64_e32 v[8:9], 0
.LBB6_1049:                             ;   in Loop: Header=BB6_1043 Depth=1
	s_mov_b64 s[10:11], 0
	s_mov_b64 s[0:1], s[4:5]
.LBB6_1050:                             ;   in Loop: Header=BB6_1043 Depth=1
	s_andn2_b64 vcc, exec, s[10:11]
	s_mov_b32 s14, 0
	s_cbranch_vccnz .LBB6_1052
; %bb.1051:                             ;   in Loop: Header=BB6_1043 Depth=1
	global_load_dwordx2 v[8:9], v29, s[4:5]
	s_add_i32 s14, s8, -8
.LBB6_1052:                             ;   in Loop: Header=BB6_1043 Depth=1
	s_add_u32 s10, s0, 8
	s_addc_u32 s11, s1, 0
	s_cmp_gt_u32 s14, 7
	s_cbranch_scc1 .LBB6_1056
; %bb.1053:                             ;   in Loop: Header=BB6_1043 Depth=1
	s_cmp_eq_u32 s14, 0
	s_cbranch_scc1 .LBB6_1057
; %bb.1054:                             ;   in Loop: Header=BB6_1043 Depth=1
	s_mov_b64 s[10:11], 0
	v_mov_b64_e32 v[10:11], 0
	s_mov_b64 s[12:13], 0
.LBB6_1055:                             ;   Parent Loop BB6_1043 Depth=1
                                        ; =>  This Inner Loop Header: Depth=2
	s_add_u32 s16, s0, s12
	s_addc_u32 s17, s1, s13
	global_load_ubyte v2, v29, s[16:17]
	s_add_u32 s12, s12, 1
	s_addc_u32 s13, s13, 0
	s_waitcnt vmcnt(0)
	v_and_b32_e32 v28, 0xffff, v2
	v_lshlrev_b64 v[2:3], s10, v[28:29]
	s_add_u32 s10, s10, 8
	s_addc_u32 s11, s11, 0
	v_or_b32_e32 v10, v2, v10
	s_cmp_lg_u32 s14, s12
	v_or_b32_e32 v11, v3, v11
	s_cbranch_scc1 .LBB6_1055
	s_branch .LBB6_1058
.LBB6_1056:                             ;   in Loop: Header=BB6_1043 Depth=1
	s_mov_b64 s[12:13], -1
                                        ; implicit-def: $vgpr10_vgpr11
	s_branch .LBB6_1059
.LBB6_1057:                             ;   in Loop: Header=BB6_1043 Depth=1
	v_mov_b64_e32 v[10:11], 0
.LBB6_1058:                             ;   in Loop: Header=BB6_1043 Depth=1
	s_mov_b64 s[12:13], 0
	s_mov_b64 s[10:11], s[0:1]
.LBB6_1059:                             ;   in Loop: Header=BB6_1043 Depth=1
	s_andn2_b64 vcc, exec, s[12:13]
	s_mov_b32 s15, 0
	s_cbranch_vccnz .LBB6_1061
; %bb.1060:                             ;   in Loop: Header=BB6_1043 Depth=1
	global_load_dwordx2 v[10:11], v29, s[0:1]
	s_add_i32 s15, s14, -8
.LBB6_1061:                             ;   in Loop: Header=BB6_1043 Depth=1
	s_add_u32 s0, s10, 8
	s_addc_u32 s1, s11, 0
	s_cmp_gt_u32 s15, 7
	s_cbranch_scc1 .LBB6_1065
; %bb.1062:                             ;   in Loop: Header=BB6_1043 Depth=1
	s_cmp_eq_u32 s15, 0
	s_cbranch_scc1 .LBB6_1066
; %bb.1063:                             ;   in Loop: Header=BB6_1043 Depth=1
	s_mov_b64 s[0:1], 0
	v_mov_b64_e32 v[12:13], 0
	s_mov_b64 s[12:13], 0
.LBB6_1064:                             ;   Parent Loop BB6_1043 Depth=1
                                        ; =>  This Inner Loop Header: Depth=2
	s_add_u32 s16, s10, s12
	s_addc_u32 s17, s11, s13
	global_load_ubyte v2, v29, s[16:17]
	s_add_u32 s12, s12, 1
	s_addc_u32 s13, s13, 0
	s_waitcnt vmcnt(0)
	v_and_b32_e32 v28, 0xffff, v2
	v_lshlrev_b64 v[2:3], s0, v[28:29]
	s_add_u32 s0, s0, 8
	s_addc_u32 s1, s1, 0
	v_or_b32_e32 v12, v2, v12
	s_cmp_lg_u32 s15, s12
	v_or_b32_e32 v13, v3, v13
	s_cbranch_scc1 .LBB6_1064
	s_branch .LBB6_1067
.LBB6_1065:                             ;   in Loop: Header=BB6_1043 Depth=1
	s_mov_b64 s[12:13], -1
	s_branch .LBB6_1068
.LBB6_1066:                             ;   in Loop: Header=BB6_1043 Depth=1
	v_mov_b64_e32 v[12:13], 0
.LBB6_1067:                             ;   in Loop: Header=BB6_1043 Depth=1
	s_mov_b64 s[12:13], 0
	s_mov_b64 s[0:1], s[10:11]
.LBB6_1068:                             ;   in Loop: Header=BB6_1043 Depth=1
	s_andn2_b64 vcc, exec, s[12:13]
	s_mov_b32 s14, 0
	s_cbranch_vccnz .LBB6_1070
; %bb.1069:                             ;   in Loop: Header=BB6_1043 Depth=1
	global_load_dwordx2 v[12:13], v29, s[10:11]
	s_add_i32 s14, s15, -8
.LBB6_1070:                             ;   in Loop: Header=BB6_1043 Depth=1
	s_add_u32 s10, s0, 8
	s_addc_u32 s11, s1, 0
	s_cmp_gt_u32 s14, 7
	s_cbranch_scc1 .LBB6_1074
; %bb.1071:                             ;   in Loop: Header=BB6_1043 Depth=1
	s_cmp_eq_u32 s14, 0
	s_cbranch_scc1 .LBB6_1075
; %bb.1072:                             ;   in Loop: Header=BB6_1043 Depth=1
	s_mov_b64 s[10:11], 0
	v_mov_b64_e32 v[14:15], 0
	s_mov_b64 s[12:13], 0
.LBB6_1073:                             ;   Parent Loop BB6_1043 Depth=1
                                        ; =>  This Inner Loop Header: Depth=2
	s_add_u32 s16, s0, s12
	s_addc_u32 s17, s1, s13
	global_load_ubyte v2, v29, s[16:17]
	s_add_u32 s12, s12, 1
	s_addc_u32 s13, s13, 0
	s_waitcnt vmcnt(0)
	v_and_b32_e32 v28, 0xffff, v2
	v_lshlrev_b64 v[2:3], s10, v[28:29]
	s_add_u32 s10, s10, 8
	s_addc_u32 s11, s11, 0
	v_or_b32_e32 v14, v2, v14
	s_cmp_lg_u32 s14, s12
	v_or_b32_e32 v15, v3, v15
	s_cbranch_scc1 .LBB6_1073
	s_branch .LBB6_1076
.LBB6_1074:                             ;   in Loop: Header=BB6_1043 Depth=1
	s_mov_b64 s[12:13], -1
                                        ; implicit-def: $vgpr14_vgpr15
	s_branch .LBB6_1077
.LBB6_1075:                             ;   in Loop: Header=BB6_1043 Depth=1
	v_mov_b64_e32 v[14:15], 0
.LBB6_1076:                             ;   in Loop: Header=BB6_1043 Depth=1
	s_mov_b64 s[12:13], 0
	s_mov_b64 s[10:11], s[0:1]
.LBB6_1077:                             ;   in Loop: Header=BB6_1043 Depth=1
	s_andn2_b64 vcc, exec, s[12:13]
	s_mov_b32 s15, 0
	s_cbranch_vccnz .LBB6_1079
; %bb.1078:                             ;   in Loop: Header=BB6_1043 Depth=1
	global_load_dwordx2 v[14:15], v29, s[0:1]
	s_add_i32 s15, s14, -8
.LBB6_1079:                             ;   in Loop: Header=BB6_1043 Depth=1
	s_add_u32 s0, s10, 8
	s_addc_u32 s1, s11, 0
	s_cmp_gt_u32 s15, 7
	s_cbranch_scc1 .LBB6_1083
; %bb.1080:                             ;   in Loop: Header=BB6_1043 Depth=1
	s_cmp_eq_u32 s15, 0
	s_cbranch_scc1 .LBB6_1084
; %bb.1081:                             ;   in Loop: Header=BB6_1043 Depth=1
	s_mov_b64 s[0:1], 0
	v_mov_b64_e32 v[16:17], 0
	s_mov_b64 s[12:13], 0
.LBB6_1082:                             ;   Parent Loop BB6_1043 Depth=1
                                        ; =>  This Inner Loop Header: Depth=2
	s_add_u32 s16, s10, s12
	s_addc_u32 s17, s11, s13
	global_load_ubyte v2, v29, s[16:17]
	s_add_u32 s12, s12, 1
	s_addc_u32 s13, s13, 0
	s_waitcnt vmcnt(0)
	v_and_b32_e32 v28, 0xffff, v2
	v_lshlrev_b64 v[2:3], s0, v[28:29]
	s_add_u32 s0, s0, 8
	s_addc_u32 s1, s1, 0
	v_or_b32_e32 v16, v2, v16
	s_cmp_lg_u32 s15, s12
	v_or_b32_e32 v17, v3, v17
	s_cbranch_scc1 .LBB6_1082
	s_branch .LBB6_1085
.LBB6_1083:                             ;   in Loop: Header=BB6_1043 Depth=1
	s_mov_b64 s[12:13], -1
	s_branch .LBB6_1086
.LBB6_1084:                             ;   in Loop: Header=BB6_1043 Depth=1
	v_mov_b64_e32 v[16:17], 0
.LBB6_1085:                             ;   in Loop: Header=BB6_1043 Depth=1
	s_mov_b64 s[12:13], 0
	s_mov_b64 s[0:1], s[10:11]
.LBB6_1086:                             ;   in Loop: Header=BB6_1043 Depth=1
	s_andn2_b64 vcc, exec, s[12:13]
	s_mov_b32 s14, 0
	s_cbranch_vccnz .LBB6_1088
; %bb.1087:                             ;   in Loop: Header=BB6_1043 Depth=1
	global_load_dwordx2 v[16:17], v29, s[10:11]
	s_add_i32 s14, s15, -8
.LBB6_1088:                             ;   in Loop: Header=BB6_1043 Depth=1
	s_add_u32 s10, s0, 8
	s_addc_u32 s11, s1, 0
	s_cmp_gt_u32 s14, 7
	s_cbranch_scc1 .LBB6_1092
; %bb.1089:                             ;   in Loop: Header=BB6_1043 Depth=1
	s_cmp_eq_u32 s14, 0
	s_cbranch_scc1 .LBB6_1093
; %bb.1090:                             ;   in Loop: Header=BB6_1043 Depth=1
	s_mov_b64 s[10:11], 0
	v_mov_b64_e32 v[18:19], 0
	s_mov_b64 s[12:13], 0
.LBB6_1091:                             ;   Parent Loop BB6_1043 Depth=1
                                        ; =>  This Inner Loop Header: Depth=2
	s_add_u32 s16, s0, s12
	s_addc_u32 s17, s1, s13
	global_load_ubyte v2, v29, s[16:17]
	s_add_u32 s12, s12, 1
	s_addc_u32 s13, s13, 0
	s_waitcnt vmcnt(0)
	v_and_b32_e32 v28, 0xffff, v2
	v_lshlrev_b64 v[2:3], s10, v[28:29]
	s_add_u32 s10, s10, 8
	s_addc_u32 s11, s11, 0
	v_or_b32_e32 v18, v2, v18
	s_cmp_lg_u32 s14, s12
	v_or_b32_e32 v19, v3, v19
	s_cbranch_scc1 .LBB6_1091
	s_branch .LBB6_1094
.LBB6_1092:                             ;   in Loop: Header=BB6_1043 Depth=1
	s_mov_b64 s[12:13], -1
                                        ; implicit-def: $vgpr18_vgpr19
	s_branch .LBB6_1095
.LBB6_1093:                             ;   in Loop: Header=BB6_1043 Depth=1
	v_mov_b64_e32 v[18:19], 0
.LBB6_1094:                             ;   in Loop: Header=BB6_1043 Depth=1
	s_mov_b64 s[12:13], 0
	s_mov_b64 s[10:11], s[0:1]
.LBB6_1095:                             ;   in Loop: Header=BB6_1043 Depth=1
	s_andn2_b64 vcc, exec, s[12:13]
	s_mov_b32 s15, 0
	s_cbranch_vccnz .LBB6_1097
; %bb.1096:                             ;   in Loop: Header=BB6_1043 Depth=1
	global_load_dwordx2 v[18:19], v29, s[0:1]
	s_add_i32 s15, s14, -8
.LBB6_1097:                             ;   in Loop: Header=BB6_1043 Depth=1
	s_cmp_gt_u32 s15, 7
	s_cbranch_scc1 .LBB6_1101
; %bb.1098:                             ;   in Loop: Header=BB6_1043 Depth=1
	s_cmp_eq_u32 s15, 0
	s_cbranch_scc1 .LBB6_1102
; %bb.1099:                             ;   in Loop: Header=BB6_1043 Depth=1
	s_mov_b64 s[0:1], 0
	v_mov_b64_e32 v[20:21], 0
	s_mov_b64 s[12:13], s[10:11]
.LBB6_1100:                             ;   Parent Loop BB6_1043 Depth=1
                                        ; =>  This Inner Loop Header: Depth=2
	global_load_ubyte v2, v29, s[12:13]
	s_add_i32 s15, s15, -1
	s_waitcnt vmcnt(0)
	v_and_b32_e32 v28, 0xffff, v2
	v_lshlrev_b64 v[2:3], s0, v[28:29]
	s_add_u32 s0, s0, 8
	s_addc_u32 s1, s1, 0
	s_add_u32 s12, s12, 1
	s_addc_u32 s13, s13, 0
	v_or_b32_e32 v20, v2, v20
	s_cmp_lg_u32 s15, 0
	v_or_b32_e32 v21, v3, v21
	s_cbranch_scc1 .LBB6_1100
	s_branch .LBB6_1103
.LBB6_1101:                             ;   in Loop: Header=BB6_1043 Depth=1
	s_mov_b64 s[0:1], -1
	s_branch .LBB6_1104
.LBB6_1102:                             ;   in Loop: Header=BB6_1043 Depth=1
	v_mov_b64_e32 v[20:21], 0
.LBB6_1103:                             ;   in Loop: Header=BB6_1043 Depth=1
	s_mov_b64 s[0:1], 0
.LBB6_1104:                             ;   in Loop: Header=BB6_1043 Depth=1
	s_andn2_b64 vcc, exec, s[0:1]
	s_cbranch_vccnz .LBB6_1106
; %bb.1105:                             ;   in Loop: Header=BB6_1043 Depth=1
	global_load_dwordx2 v[20:21], v29, s[10:11]
.LBB6_1106:                             ;   in Loop: Header=BB6_1043 Depth=1
	v_readfirstlane_b32 s0, v32
	v_mov_b64_e32 v[2:3], 0
	s_nop 0
	v_cmp_eq_u32_e64 s[0:1], s0, v32
	s_and_saveexec_b64 s[10:11], s[0:1]
	s_cbranch_execz .LBB6_1112
; %bb.1107:                             ;   in Loop: Header=BB6_1043 Depth=1
	global_load_dwordx2 v[24:25], v29, s[2:3] offset:24 sc0 sc1
	s_waitcnt vmcnt(0)
	buffer_inv sc0 sc1
	global_load_dwordx2 v[2:3], v29, s[2:3] offset:40
	global_load_dwordx2 v[22:23], v29, s[2:3]
	s_waitcnt vmcnt(1)
	v_and_b32_e32 v2, v2, v24
	v_and_b32_e32 v3, v3, v25
	v_mul_lo_u32 v3, v3, 24
	v_mul_hi_u32 v27, v2, 24
	v_add_u32_e32 v3, v27, v3
	v_mul_lo_u32 v2, v2, 24
	s_waitcnt vmcnt(0)
	v_lshl_add_u64 v[2:3], v[22:23], 0, v[2:3]
	global_load_dwordx2 v[22:23], v[2:3], off sc0 sc1
	s_waitcnt vmcnt(0)
	global_atomic_cmpswap_x2 v[2:3], v29, v[22:25], s[2:3] offset:24 sc0 sc1
	s_waitcnt vmcnt(0)
	buffer_inv sc0 sc1
	v_cmp_ne_u64_e32 vcc, v[2:3], v[24:25]
	s_and_saveexec_b64 s[12:13], vcc
	s_cbranch_execz .LBB6_1111
; %bb.1108:                             ;   in Loop: Header=BB6_1043 Depth=1
	s_mov_b64 s[14:15], 0
.LBB6_1109:                             ;   Parent Loop BB6_1043 Depth=1
                                        ; =>  This Inner Loop Header: Depth=2
	s_sleep 1
	global_load_dwordx2 v[22:23], v29, s[2:3] offset:40
	global_load_dwordx2 v[30:31], v29, s[2:3]
	v_mov_b64_e32 v[24:25], v[2:3]
	s_waitcnt vmcnt(1)
	v_and_b32_e32 v2, v22, v24
	s_waitcnt vmcnt(0)
	v_mad_u64_u32 v[2:3], s[16:17], v2, 24, v[30:31]
	v_and_b32_e32 v23, v23, v25
	v_mov_b32_e32 v22, v3
	v_mad_u64_u32 v[22:23], s[16:17], v23, 24, v[22:23]
	v_mov_b32_e32 v3, v22
	global_load_dwordx2 v[22:23], v[2:3], off sc0 sc1
	s_waitcnt vmcnt(0)
	global_atomic_cmpswap_x2 v[2:3], v29, v[22:25], s[2:3] offset:24 sc0 sc1
	s_waitcnt vmcnt(0)
	buffer_inv sc0 sc1
	v_cmp_eq_u64_e32 vcc, v[2:3], v[24:25]
	s_or_b64 s[14:15], vcc, s[14:15]
	s_andn2_b64 exec, exec, s[14:15]
	s_cbranch_execnz .LBB6_1109
; %bb.1110:                             ;   in Loop: Header=BB6_1043 Depth=1
	s_or_b64 exec, exec, s[14:15]
.LBB6_1111:                             ;   in Loop: Header=BB6_1043 Depth=1
	s_or_b64 exec, exec, s[12:13]
.LBB6_1112:                             ;   in Loop: Header=BB6_1043 Depth=1
	s_or_b64 exec, exec, s[10:11]
	global_load_dwordx2 v[30:31], v29, s[2:3] offset:40
	global_load_dwordx4 v[22:25], v29, s[2:3]
	v_readfirstlane_b32 s11, v3
	v_readfirstlane_b32 s10, v2
	s_mov_b64 s[12:13], exec
	s_waitcnt vmcnt(1)
	v_readfirstlane_b32 s14, v30
	v_readfirstlane_b32 s15, v31
	s_and_b64 s[14:15], s[14:15], s[10:11]
	s_mul_i32 s16, s15, 24
	s_mul_hi_u32 s17, s14, 24
	s_add_i32 s17, s17, s16
	s_mul_i32 s16, s14, 24
	s_waitcnt vmcnt(0)
	v_lshl_add_u64 v[30:31], v[22:23], 0, s[16:17]
	s_and_saveexec_b64 s[16:17], s[0:1]
	s_cbranch_execz .LBB6_1114
; %bb.1113:                             ;   in Loop: Header=BB6_1043 Depth=1
	v_mov_b64_e32 v[2:3], s[12:13]
	global_store_dwordx4 v[30:31], v[2:5], off offset:8
.LBB6_1114:                             ;   in Loop: Header=BB6_1043 Depth=1
	s_or_b64 exec, exec, s[16:17]
	s_lshl_b64 s[12:13], s[14:15], 12
	v_lshl_add_u64 v[2:3], v[24:25], 0, s[12:13]
	v_cmp_gt_u64_e64 s[12:13], s[6:7], 56
	s_and_b64 s[12:13], s[12:13], exec
	s_cselect_b32 s12, 0, 2
	s_lshl_b32 s13, s8, 2
	s_add_i32 s13, s13, 28
	v_and_b32_e32 v6, 0xffffff1f, v6
	s_and_b32 s13, s13, 0x1e0
	v_or_b32_e32 v6, s12, v6
	v_or_b32_e32 v6, s13, v6
	v_readfirstlane_b32 s12, v2
	v_readfirstlane_b32 s13, v3
	s_nop 4
	global_store_dwordx4 v26, v[6:9], s[12:13]
	global_store_dwordx4 v26, v[10:13], s[12:13] offset:16
	global_store_dwordx4 v26, v[14:17], s[12:13] offset:32
	;; [unrolled: 1-line block ×3, first 2 shown]
	s_and_saveexec_b64 s[12:13], s[0:1]
	s_cbranch_execz .LBB6_1122
; %bb.1115:                             ;   in Loop: Header=BB6_1043 Depth=1
	global_load_dwordx2 v[14:15], v29, s[2:3] offset:32 sc0 sc1
	global_load_dwordx2 v[6:7], v29, s[2:3] offset:40
	v_mov_b32_e32 v12, s10
	v_mov_b32_e32 v13, s11
	s_waitcnt vmcnt(0)
	v_readfirstlane_b32 s14, v6
	v_readfirstlane_b32 s15, v7
	s_and_b64 s[14:15], s[14:15], s[10:11]
	s_mul_i32 s15, s15, 24
	s_mul_hi_u32 s16, s14, 24
	s_mul_i32 s14, s14, 24
	s_add_i32 s15, s16, s15
	v_lshl_add_u64 v[10:11], v[22:23], 0, s[14:15]
	global_store_dwordx2 v[10:11], v[14:15], off
	buffer_wbl2 sc0 sc1
	s_waitcnt vmcnt(0)
	global_atomic_cmpswap_x2 v[8:9], v29, v[12:15], s[2:3] offset:32 sc0 sc1
	s_waitcnt vmcnt(0)
	v_cmp_ne_u64_e32 vcc, v[8:9], v[14:15]
	s_and_saveexec_b64 s[14:15], vcc
	s_cbranch_execz .LBB6_1118
; %bb.1116:                             ;   in Loop: Header=BB6_1043 Depth=1
	s_mov_b64 s[16:17], 0
.LBB6_1117:                             ;   Parent Loop BB6_1043 Depth=1
                                        ; =>  This Inner Loop Header: Depth=2
	s_sleep 1
	global_store_dwordx2 v[10:11], v[8:9], off
	v_mov_b32_e32 v6, s10
	v_mov_b32_e32 v7, s11
	buffer_wbl2 sc0 sc1
	s_waitcnt vmcnt(0)
	global_atomic_cmpswap_x2 v[6:7], v29, v[6:9], s[2:3] offset:32 sc0 sc1
	s_waitcnt vmcnt(0)
	v_cmp_eq_u64_e32 vcc, v[6:7], v[8:9]
	s_or_b64 s[16:17], vcc, s[16:17]
	v_mov_b64_e32 v[8:9], v[6:7]
	s_andn2_b64 exec, exec, s[16:17]
	s_cbranch_execnz .LBB6_1117
.LBB6_1118:                             ;   in Loop: Header=BB6_1043 Depth=1
	s_or_b64 exec, exec, s[14:15]
	global_load_dwordx2 v[6:7], v29, s[2:3] offset:16
	s_mov_b64 s[16:17], exec
	v_mbcnt_lo_u32_b32 v8, s16, 0
	v_mbcnt_hi_u32_b32 v8, s17, v8
	v_cmp_eq_u32_e32 vcc, 0, v8
	s_and_saveexec_b64 s[14:15], vcc
	s_cbranch_execz .LBB6_1120
; %bb.1119:                             ;   in Loop: Header=BB6_1043 Depth=1
	s_bcnt1_i32_b64 s16, s[16:17]
	v_mov_b32_e32 v28, s16
	buffer_wbl2 sc0 sc1
	s_waitcnt vmcnt(0)
	global_atomic_add_x2 v[6:7], v[28:29], off offset:8 sc1
.LBB6_1120:                             ;   in Loop: Header=BB6_1043 Depth=1
	s_or_b64 exec, exec, s[14:15]
	s_waitcnt vmcnt(0)
	global_load_dwordx2 v[8:9], v[6:7], off offset:16
	s_waitcnt vmcnt(0)
	v_cmp_eq_u64_e32 vcc, 0, v[8:9]
	s_cbranch_vccnz .LBB6_1122
; %bb.1121:                             ;   in Loop: Header=BB6_1043 Depth=1
	global_load_dword v28, v[6:7], off offset:24
	s_waitcnt vmcnt(0)
	v_readfirstlane_b32 s14, v28
	s_and_b32 m0, s14, 0xffffff
	buffer_wbl2 sc0 sc1
	global_store_dwordx2 v[8:9], v[28:29], off sc0 sc1
	s_sendmsg sendmsg(MSG_INTERRUPT)
.LBB6_1122:                             ;   in Loop: Header=BB6_1043 Depth=1
	s_or_b64 exec, exec, s[12:13]
	v_mov_b32_e32 v27, v29
	v_lshl_add_u64 v[2:3], v[2:3], 0, v[26:27]
	s_branch .LBB6_1126
.LBB6_1123:                             ;   in Loop: Header=BB6_1126 Depth=2
	s_or_b64 exec, exec, s[12:13]
	v_readfirstlane_b32 s12, v6
	s_cmp_eq_u32 s12, 0
	s_cbranch_scc1 .LBB6_1125
; %bb.1124:                             ;   in Loop: Header=BB6_1126 Depth=2
	s_sleep 1
	s_cbranch_execnz .LBB6_1126
	s_branch .LBB6_1128
.LBB6_1125:                             ;   in Loop: Header=BB6_1043 Depth=1
	s_branch .LBB6_1128
.LBB6_1126:                             ;   Parent Loop BB6_1043 Depth=1
                                        ; =>  This Inner Loop Header: Depth=2
	v_mov_b32_e32 v6, 1
	s_and_saveexec_b64 s[12:13], s[0:1]
	s_cbranch_execz .LBB6_1123
; %bb.1127:                             ;   in Loop: Header=BB6_1126 Depth=2
	global_load_dword v6, v[30:31], off offset:20 sc0 sc1
	s_waitcnt vmcnt(0)
	buffer_inv sc0 sc1
	v_and_b32_e32 v6, 1, v6
	s_branch .LBB6_1123
.LBB6_1128:                             ;   in Loop: Header=BB6_1043 Depth=1
	global_load_dwordx4 v[6:9], v[2:3], off
	s_and_saveexec_b64 s[12:13], s[0:1]
	s_cbranch_execz .LBB6_1042
; %bb.1129:                             ;   in Loop: Header=BB6_1043 Depth=1
	global_load_dwordx2 v[2:3], v29, s[2:3] offset:40
	global_load_dwordx2 v[12:13], v29, s[2:3] offset:24 sc0 sc1
	global_load_dwordx2 v[8:9], v29, s[2:3]
	s_waitcnt vmcnt(2)
	v_readfirstlane_b32 s14, v2
	v_readfirstlane_b32 s15, v3
	s_add_u32 s16, s14, 1
	s_addc_u32 s17, s15, 0
	s_add_u32 s0, s16, s10
	s_addc_u32 s1, s17, s11
	s_cmp_eq_u64 s[0:1], 0
	s_cselect_b32 s1, s17, s1
	s_cselect_b32 s0, s16, s0
	s_and_b64 s[10:11], s[0:1], s[14:15]
	s_mul_i32 s11, s11, 24
	s_mul_hi_u32 s14, s10, 24
	s_mul_i32 s10, s10, 24
	s_add_i32 s11, s14, s11
	s_waitcnt vmcnt(0)
	v_lshl_add_u64 v[2:3], v[8:9], 0, s[10:11]
	v_mov_b32_e32 v10, s0
	global_store_dwordx2 v[2:3], v[12:13], off
	v_mov_b32_e32 v11, s1
	buffer_wbl2 sc0 sc1
	s_waitcnt vmcnt(0)
	global_atomic_cmpswap_x2 v[10:11], v29, v[10:13], s[2:3] offset:24 sc0 sc1
	s_waitcnt vmcnt(0)
	v_cmp_ne_u64_e32 vcc, v[10:11], v[12:13]
	s_and_b64 exec, exec, vcc
	s_cbranch_execz .LBB6_1042
; %bb.1130:                             ;   in Loop: Header=BB6_1043 Depth=1
	s_mov_b64 s[10:11], 0
.LBB6_1131:                             ;   Parent Loop BB6_1043 Depth=1
                                        ; =>  This Inner Loop Header: Depth=2
	s_sleep 1
	global_store_dwordx2 v[2:3], v[10:11], off
	v_mov_b32_e32 v8, s0
	v_mov_b32_e32 v9, s1
	buffer_wbl2 sc0 sc1
	s_waitcnt vmcnt(0)
	global_atomic_cmpswap_x2 v[8:9], v29, v[8:11], s[2:3] offset:24 sc0 sc1
	s_waitcnt vmcnt(0)
	v_cmp_eq_u64_e32 vcc, v[8:9], v[10:11]
	s_or_b64 s[10:11], vcc, s[10:11]
	v_mov_b64_e32 v[10:11], v[8:9]
	s_andn2_b64 exec, exec, s[10:11]
	s_cbranch_execnz .LBB6_1131
	s_branch .LBB6_1042
.LBB6_1132:
	s_mov_b64 s[0:1], 0
	s_branch .LBB6_1134
.LBB6_1133:
	s_mov_b64 s[0:1], -1
.LBB6_1134:
	s_and_b64 vcc, exec, s[0:1]
	s_cbranch_vccz .LBB6_1161
; %bb.1135:
	v_readfirstlane_b32 s0, v32
	s_waitcnt vmcnt(0)
	v_mov_b64_e32 v[8:9], 0
	v_cmp_eq_u32_e64 s[0:1], s0, v32
	s_and_saveexec_b64 s[4:5], s[0:1]
	s_cbranch_execz .LBB6_1141
; %bb.1136:
	v_mov_b32_e32 v2, 0
	global_load_dwordx2 v[6:7], v2, s[2:3] offset:24 sc0 sc1
	s_waitcnt vmcnt(0)
	buffer_inv sc0 sc1
	global_load_dwordx2 v[4:5], v2, s[2:3] offset:40
	global_load_dwordx2 v[8:9], v2, s[2:3]
	s_waitcnt vmcnt(1)
	v_and_b32_e32 v3, v4, v6
	v_and_b32_e32 v4, v5, v7
	v_mul_lo_u32 v4, v4, 24
	v_mul_hi_u32 v5, v3, 24
	v_add_u32_e32 v5, v5, v4
	v_mul_lo_u32 v4, v3, 24
	s_waitcnt vmcnt(0)
	v_lshl_add_u64 v[4:5], v[8:9], 0, v[4:5]
	global_load_dwordx2 v[4:5], v[4:5], off sc0 sc1
	s_waitcnt vmcnt(0)
	global_atomic_cmpswap_x2 v[8:9], v2, v[4:7], s[2:3] offset:24 sc0 sc1
	s_waitcnt vmcnt(0)
	buffer_inv sc0 sc1
	v_cmp_ne_u64_e32 vcc, v[8:9], v[6:7]
	s_and_saveexec_b64 s[6:7], vcc
	s_cbranch_execz .LBB6_1140
; %bb.1137:
	s_mov_b64 s[8:9], 0
.LBB6_1138:                             ; =>This Inner Loop Header: Depth=1
	s_sleep 1
	global_load_dwordx2 v[4:5], v2, s[2:3] offset:40
	global_load_dwordx2 v[10:11], v2, s[2:3]
	v_mov_b64_e32 v[6:7], v[8:9]
	s_waitcnt vmcnt(1)
	v_and_b32_e32 v4, v4, v6
	v_and_b32_e32 v3, v5, v7
	s_waitcnt vmcnt(0)
	v_mad_u64_u32 v[4:5], s[10:11], v4, 24, v[10:11]
	v_mov_b32_e32 v8, v5
	v_mad_u64_u32 v[8:9], s[10:11], v3, 24, v[8:9]
	v_mov_b32_e32 v5, v8
	global_load_dwordx2 v[4:5], v[4:5], off sc0 sc1
	s_waitcnt vmcnt(0)
	global_atomic_cmpswap_x2 v[8:9], v2, v[4:7], s[2:3] offset:24 sc0 sc1
	s_waitcnt vmcnt(0)
	buffer_inv sc0 sc1
	v_cmp_eq_u64_e32 vcc, v[8:9], v[6:7]
	s_or_b64 s[8:9], vcc, s[8:9]
	s_andn2_b64 exec, exec, s[8:9]
	s_cbranch_execnz .LBB6_1138
; %bb.1139:
	s_or_b64 exec, exec, s[8:9]
.LBB6_1140:
	s_or_b64 exec, exec, s[6:7]
.LBB6_1141:
	s_or_b64 exec, exec, s[4:5]
	v_mov_b32_e32 v2, 0
	global_load_dwordx2 v[10:11], v2, s[2:3] offset:40
	global_load_dwordx4 v[4:7], v2, s[2:3]
	v_readfirstlane_b32 s5, v9
	v_readfirstlane_b32 s4, v8
	s_mov_b64 s[6:7], exec
	s_waitcnt vmcnt(1)
	v_readfirstlane_b32 s8, v10
	v_readfirstlane_b32 s9, v11
	s_and_b64 s[8:9], s[8:9], s[4:5]
	s_mul_i32 s10, s9, 24
	s_mul_hi_u32 s11, s8, 24
	s_add_i32 s11, s11, s10
	s_mul_i32 s10, s8, 24
	s_waitcnt vmcnt(0)
	v_lshl_add_u64 v[8:9], v[4:5], 0, s[10:11]
	s_and_saveexec_b64 s[10:11], s[0:1]
	s_cbranch_execz .LBB6_1143
; %bb.1142:
	v_mov_b64_e32 v[10:11], s[6:7]
	v_mov_b32_e32 v12, 2
	v_mov_b32_e32 v13, 1
	global_store_dwordx4 v[8:9], v[10:13], off offset:8
.LBB6_1143:
	s_or_b64 exec, exec, s[10:11]
	s_lshl_b64 s[6:7], s[8:9], 12
	v_lshl_add_u64 v[6:7], v[6:7], 0, s[6:7]
	s_movk_i32 s6, 0xff1d
	s_mov_b32 s8, 0
	v_and_or_b32 v0, v0, s6, 34
	v_mov_b32_e32 v3, v2
	v_readfirstlane_b32 s6, v6
	v_readfirstlane_b32 s7, v7
	s_mov_b32 s9, s8
	s_mov_b32 s10, s8
	;; [unrolled: 1-line block ×3, first 2 shown]
	s_nop 1
	global_store_dwordx4 v26, v[0:3], s[6:7]
	s_nop 1
	v_mov_b64_e32 v[0:1], s[8:9]
	v_mov_b64_e32 v[2:3], s[10:11]
	global_store_dwordx4 v26, v[0:3], s[6:7] offset:16
	global_store_dwordx4 v26, v[0:3], s[6:7] offset:32
	;; [unrolled: 1-line block ×3, first 2 shown]
	s_and_saveexec_b64 s[6:7], s[0:1]
	s_cbranch_execz .LBB6_1151
; %bb.1144:
	v_mov_b32_e32 v6, 0
	global_load_dwordx2 v[12:13], v6, s[2:3] offset:32 sc0 sc1
	global_load_dwordx2 v[0:1], v6, s[2:3] offset:40
	v_mov_b32_e32 v10, s4
	v_mov_b32_e32 v11, s5
	s_waitcnt vmcnt(0)
	v_readfirstlane_b32 s8, v0
	v_readfirstlane_b32 s9, v1
	s_and_b64 s[8:9], s[8:9], s[4:5]
	s_mul_i32 s9, s9, 24
	s_mul_hi_u32 s10, s8, 24
	s_mul_i32 s8, s8, 24
	s_add_i32 s9, s10, s9
	v_lshl_add_u64 v[4:5], v[4:5], 0, s[8:9]
	global_store_dwordx2 v[4:5], v[12:13], off
	buffer_wbl2 sc0 sc1
	s_waitcnt vmcnt(0)
	global_atomic_cmpswap_x2 v[2:3], v6, v[10:13], s[2:3] offset:32 sc0 sc1
	s_waitcnt vmcnt(0)
	v_cmp_ne_u64_e32 vcc, v[2:3], v[12:13]
	s_and_saveexec_b64 s[8:9], vcc
	s_cbranch_execz .LBB6_1147
; %bb.1145:
	s_mov_b64 s[10:11], 0
.LBB6_1146:                             ; =>This Inner Loop Header: Depth=1
	s_sleep 1
	global_store_dwordx2 v[4:5], v[2:3], off
	v_mov_b32_e32 v0, s4
	v_mov_b32_e32 v1, s5
	buffer_wbl2 sc0 sc1
	s_waitcnt vmcnt(0)
	global_atomic_cmpswap_x2 v[0:1], v6, v[0:3], s[2:3] offset:32 sc0 sc1
	s_waitcnt vmcnt(0)
	v_cmp_eq_u64_e32 vcc, v[0:1], v[2:3]
	s_or_b64 s[10:11], vcc, s[10:11]
	v_mov_b64_e32 v[2:3], v[0:1]
	s_andn2_b64 exec, exec, s[10:11]
	s_cbranch_execnz .LBB6_1146
.LBB6_1147:
	s_or_b64 exec, exec, s[8:9]
	v_mov_b32_e32 v3, 0
	global_load_dwordx2 v[0:1], v3, s[2:3] offset:16
	s_mov_b64 s[8:9], exec
	v_mbcnt_lo_u32_b32 v2, s8, 0
	v_mbcnt_hi_u32_b32 v2, s9, v2
	v_cmp_eq_u32_e32 vcc, 0, v2
	s_and_saveexec_b64 s[10:11], vcc
	s_cbranch_execz .LBB6_1149
; %bb.1148:
	s_bcnt1_i32_b64 s8, s[8:9]
	v_mov_b32_e32 v2, s8
	buffer_wbl2 sc0 sc1
	s_waitcnt vmcnt(0)
	global_atomic_add_x2 v[0:1], v[2:3], off offset:8 sc1
.LBB6_1149:
	s_or_b64 exec, exec, s[10:11]
	s_waitcnt vmcnt(0)
	global_load_dwordx2 v[2:3], v[0:1], off offset:16
	s_waitcnt vmcnt(0)
	v_cmp_eq_u64_e32 vcc, 0, v[2:3]
	s_cbranch_vccnz .LBB6_1151
; %bb.1150:
	global_load_dword v0, v[0:1], off offset:24
	v_mov_b32_e32 v1, 0
	s_waitcnt vmcnt(0)
	v_readfirstlane_b32 s8, v0
	s_and_b32 m0, s8, 0xffffff
	buffer_wbl2 sc0 sc1
	global_store_dwordx2 v[2:3], v[0:1], off sc0 sc1
	s_sendmsg sendmsg(MSG_INTERRUPT)
.LBB6_1151:
	s_or_b64 exec, exec, s[6:7]
	s_branch .LBB6_1155
.LBB6_1152:                             ;   in Loop: Header=BB6_1155 Depth=1
	s_or_b64 exec, exec, s[6:7]
	v_readfirstlane_b32 s6, v0
	s_cmp_eq_u32 s6, 0
	s_cbranch_scc1 .LBB6_1154
; %bb.1153:                             ;   in Loop: Header=BB6_1155 Depth=1
	s_sleep 1
	s_cbranch_execnz .LBB6_1155
	s_branch .LBB6_1157
.LBB6_1154:
	s_branch .LBB6_1157
.LBB6_1155:                             ; =>This Inner Loop Header: Depth=1
	v_mov_b32_e32 v0, 1
	s_and_saveexec_b64 s[6:7], s[0:1]
	s_cbranch_execz .LBB6_1152
; %bb.1156:                             ;   in Loop: Header=BB6_1155 Depth=1
	global_load_dword v0, v[8:9], off offset:20 sc0 sc1
	s_waitcnt vmcnt(0)
	buffer_inv sc0 sc1
	v_and_b32_e32 v0, 1, v0
	s_branch .LBB6_1152
.LBB6_1157:
	s_and_saveexec_b64 s[6:7], s[0:1]
	s_cbranch_execz .LBB6_1160
; %bb.1158:
	v_mov_b32_e32 v6, 0
	global_load_dwordx2 v[0:1], v6, s[2:3] offset:40
	global_load_dwordx2 v[10:11], v6, s[2:3] offset:24 sc0 sc1
	global_load_dwordx2 v[2:3], v6, s[2:3]
	s_waitcnt vmcnt(2)
	v_readfirstlane_b32 s8, v0
	v_readfirstlane_b32 s9, v1
	s_add_u32 s10, s8, 1
	s_addc_u32 s11, s9, 0
	s_add_u32 s0, s10, s4
	s_addc_u32 s1, s11, s5
	s_cmp_eq_u64 s[0:1], 0
	s_cselect_b32 s1, s11, s1
	s_cselect_b32 s0, s10, s0
	s_and_b64 s[4:5], s[0:1], s[8:9]
	s_mul_i32 s5, s5, 24
	s_mul_hi_u32 s8, s4, 24
	s_mul_i32 s4, s4, 24
	s_add_i32 s5, s8, s5
	s_waitcnt vmcnt(0)
	v_lshl_add_u64 v[4:5], v[2:3], 0, s[4:5]
	v_mov_b32_e32 v8, s0
	global_store_dwordx2 v[4:5], v[10:11], off
	v_mov_b32_e32 v9, s1
	buffer_wbl2 sc0 sc1
	s_waitcnt vmcnt(0)
	global_atomic_cmpswap_x2 v[2:3], v6, v[8:11], s[2:3] offset:24 sc0 sc1
	s_mov_b64 s[4:5], 0
	s_waitcnt vmcnt(0)
	v_cmp_ne_u64_e32 vcc, v[2:3], v[10:11]
	s_and_b64 exec, exec, vcc
	s_cbranch_execz .LBB6_1160
.LBB6_1159:                             ; =>This Inner Loop Header: Depth=1
	s_sleep 1
	global_store_dwordx2 v[4:5], v[2:3], off
	v_mov_b32_e32 v0, s0
	v_mov_b32_e32 v1, s1
	buffer_wbl2 sc0 sc1
	s_waitcnt vmcnt(0)
	global_atomic_cmpswap_x2 v[0:1], v6, v[0:3], s[2:3] offset:24 sc0 sc1
	s_waitcnt vmcnt(0)
	v_cmp_eq_u64_e32 vcc, v[0:1], v[2:3]
	s_or_b64 s[4:5], vcc, s[4:5]
	v_mov_b64_e32 v[2:3], v[0:1]
	s_andn2_b64 exec, exec, s[4:5]
	s_cbranch_execnz .LBB6_1159
.LBB6_1160:
	s_or_b64 exec, exec, s[6:7]
.LBB6_1161:
	s_getpc_b64 s[0:1]
	s_add_u32 s0, s0, .str.29@rel32@lo+4
	s_addc_u32 s1, s1, .str.29@rel32@hi+12
	s_getpc_b64 s[2:3]
	s_add_u32 s2, s2, .str.19@rel32@lo+4
	s_addc_u32 s3, s3, .str.19@rel32@hi+12
	s_getpc_b64 s[4:5]
	s_add_u32 s4, s4, __PRETTY_FUNCTION__._ZN7VecsMemIjLi8192EE5fetchEi@rel32@lo+4
	s_addc_u32 s5, s5, __PRETTY_FUNCTION__._ZN7VecsMemIjLi8192EE5fetchEi@rel32@hi+12
	s_getpc_b64 s[6:7]
	s_add_u32 s6, s6, __assert_fail@rel32@lo+4
	s_addc_u32 s7, s7, __assert_fail@rel32@hi+12
	s_mov_b64 s[8:9], s[64:65]
	s_waitcnt vmcnt(0)
	v_mov_b32_e32 v0, s0
	v_mov_b32_e32 v1, s1
	;; [unrolled: 1-line block ×7, first 2 shown]
	s_swappc_b64 s[30:31], s[6:7]
	s_or_b64 s[0:1], s[84:85], exec
.LBB6_1162:
	s_or_b64 exec, exec, s[26:27]
	s_andn2_b64 s[2:3], s[84:85], exec
	s_and_b64 s[0:1], s[0:1], exec
	s_or_b64 s[96:97], s[2:3], s[0:1]
	s_orn2_b64 s[0:1], s[22:23], exec
.LBB6_1163:
	s_or_b64 exec, exec, s[24:25]
	s_mov_b64 s[2:3], 0
                                        ; implicit-def: $vgpr41
	s_mov_b64 s[4:5], exec
	v_writelane_b32 v47, s4, 48
	s_and_b64 s[0:1], s[4:5], s[0:1]
	s_nop 0
	v_writelane_b32 v47, s5, 49
	s_mov_b64 exec, s[0:1]
	s_cbranch_execz .LBB6_1390
; %bb.1164:
	s_mov_b32 s6, 0
	v_cmp_lt_i32_e32 vcc, 0, v70
	s_mov_b64 s[2:3], -1
	scratch_store_dwordx2 off, v[80:81], s33 offset:64
	s_and_saveexec_b64 s[0:1], vcc
	s_cbranch_execz .LBB6_1172
; %bb.1165:
	v_not_b32_e32 v4, v53
	v_mov_b32_e32 v0, 0
	s_mov_b64 s[2:3], 0
	v_mov_b32_e32 v5, 0
	s_branch .LBB6_1167
.LBB6_1166:                             ;   in Loop: Header=BB6_1167 Depth=1
	s_or_b64 exec, exec, s[4:5]
	v_ashrrev_i32_e32 v1, 31, v0
	v_lshl_add_u64 v[0:1], v[0:1], 2, v[2:3]
	flat_store_dword v[0:1], v6
	flat_load_dword v0, v[54:55] offset:4
	s_add_i32 s6, s6, 1
	v_lshl_add_u64 v[64:65], v[64:65], 0, 4
	s_waitcnt vmcnt(0) lgkmcnt(0)
	v_cmp_ge_i32_e32 vcc, s6, v0
	s_or_b64 s[2:3], vcc, s[2:3]
	v_mov_b32_e32 v0, v7
	s_andn2_b64 exec, exec, s[2:3]
	s_cbranch_execz .LBB6_1171
.LBB6_1167:                             ; =>This Inner Loop Header: Depth=1
	flat_load_dword v6, v[64:65]
                                        ; implicit-def: $vgpr7
	s_waitcnt vmcnt(0) lgkmcnt(0)
	v_and_b32_e32 v1, v6, v53
	v_cmp_ne_u32_e32 vcc, 0, v1
	s_and_saveexec_b64 s[4:5], vcc
	s_xor_b64 s[4:5], exec, s[4:5]
	s_cbranch_execz .LBB6_1169
; %bb.1168:                             ;   in Loop: Header=BB6_1167 Depth=1
	v_and_b32_e32 v6, v6, v4
	v_add_u32_e32 v7, 1, v0
	scratch_store_dword off, v7, s33 offset:44
.LBB6_1169:                             ;   in Loop: Header=BB6_1167 Depth=1
	s_or_saveexec_b64 s[4:5], s[4:5]
	v_mov_b32_e32 v8, v5
	v_mov_b64_e32 v[2:3], v[68:69]
	s_xor_b64 exec, exec, s[4:5]
	s_cbranch_execz .LBB6_1166
; %bb.1170:                             ;   in Loop: Header=BB6_1167 Depth=1
	v_add_u32_e32 v8, 1, v5
	v_mov_b32_e32 v7, v0
	v_mov_b32_e32 v0, v5
	v_mov_b64_e32 v[2:3], v[80:81]
	v_mov_b32_e32 v5, v8
	scratch_store_dword off, v8, s33 offset:60
	s_branch .LBB6_1166
.LBB6_1171:
	s_or_b64 exec, exec, s[2:3]
	v_cmp_eq_u32_e32 vcc, 0, v8
	s_orn2_b64 s[2:3], vcc, exec
.LBB6_1172:
	s_or_b64 exec, exec, s[0:1]
	flat_load_dword v0, v[66:67] offset:4
	s_xor_b64 s[54:55], s[2:3], -1
	s_getpc_b64 s[0:1]
	s_add_u32 s0, s0, _ZN3sop23sopFactorTrivialCubeRecEjiiPN8subgUtil4SubgILi256EEE@rel32@lo+4
	s_addc_u32 s1, s1, _ZN3sop23sopFactorTrivialCubeRecEjiiPN8subgUtil4SubgILi256EEE@rel32@hi+12
	s_mov_b64 s[8:9], s[64:65]
	v_mov_b32_e32 v1, 0
	v_mov_b32_e32 v2, v44
	;; [unrolled: 1-line block ×4, first 2 shown]
	s_mov_b64 s[86:87], src_private_base
	s_swappc_b64 s[30:31], s[0:1]
	s_getpc_b64 s[0:1]
	s_add_u32 s0, s0, _ZN3sop12sopFactorRecEPNS_3SopEiP7VecsMemIjLi8192EEPN8subgUtil4SubgILi256EEE@rel32@lo+4
	s_addc_u32 s1, s1, _ZN3sop12sopFactorRecEPNS_3SopEiP7VecsMemIjLi8192EEPN8subgUtil4SubgILi256EEE@rel32@hi+12
	s_add_i32 s2, s33, 40
	v_mov_b32_e32 v40, v0
	s_mov_b64 s[8:9], s[64:65]
	v_mov_b32_e32 v0, s2
	v_mov_b32_e32 v1, s87
	;; [unrolled: 1-line block ×7, first 2 shown]
	s_swappc_b64 s[30:31], s[0:1]
	flat_load_dword v2, v[42:43]
	s_movk_i32 s0, 0xff
	s_mov_b64 s[34:35], s[96:97]
	s_waitcnt vmcnt(0) lgkmcnt(0)
	v_cmp_lt_i32_e32 vcc, s0, v2
	s_and_saveexec_b64 s[0:1], vcc
	s_xor_b64 s[22:23], exec, s[0:1]
	s_cbranch_execz .LBB6_1174
; %bb.1173:
	s_getpc_b64 s[0:1]
	s_add_u32 s0, s0, .str.43@rel32@lo+4
	s_addc_u32 s1, s1, .str.43@rel32@hi+12
	s_getpc_b64 s[2:3]
	s_add_u32 s2, s2, .str.44@rel32@lo+4
	s_addc_u32 s3, s3, .str.44@rel32@hi+12
	s_getpc_b64 s[4:5]
	s_add_u32 s4, s4, __PRETTY_FUNCTION__._ZN8subgUtil4SubgILi256EE10addNodeAndEii@rel32@lo+4
	s_addc_u32 s5, s5, __PRETTY_FUNCTION__._ZN8subgUtil4SubgILi256EE10addNodeAndEii@rel32@hi+12
	s_getpc_b64 s[6:7]
	s_add_u32 s6, s6, __assert_fail@rel32@lo+4
	s_addc_u32 s7, s7, __assert_fail@rel32@hi+12
	s_mov_b64 s[8:9], s[64:65]
	v_mov_b32_e32 v0, s0
	v_mov_b32_e32 v1, s1
	;; [unrolled: 1-line block ×7, first 2 shown]
	s_swappc_b64 s[30:31], s[6:7]
	s_or_b64 s[34:35], s[96:97], exec
                                        ; implicit-def: $vgpr0
                                        ; implicit-def: $vgpr40
                                        ; implicit-def: $vgpr2
                                        ; implicit-def: $vgpr42_vgpr43
                                        ; implicit-def: $vgpr58_vgpr59
                                        ; implicit-def: $vgpr44
.LBB6_1174:
	s_or_saveexec_b64 s[36:37], s[22:23]
	s_mov_b64 s[0:1], 0
                                        ; implicit-def: $vgpr41
	s_xor_b64 exec, exec, s[36:37]
	s_cbranch_execz .LBB6_1389
; %bb.1175:
	v_or_b32_e32 v1, v0, v40
	v_cmp_lt_i32_e32 vcc, -1, v1
	s_mov_b64 s[22:23], 0
	s_mov_b64 s[24:25], s[34:35]
                                        ; implicit-def: $vgpr41
	s_and_saveexec_b64 s[0:1], vcc
	s_xor_b64 s[38:39], exec, s[0:1]
	s_cbranch_execz .LBB6_1386
; %bb.1176:
	v_add_u32_e32 v3, 1, v2
	v_min_i32_e32 v1, v40, v0
	v_max_i32_e32 v0, v40, v0
	flat_store_dword v[42:43], v3
	v_ashrrev_i32_e32 v3, 31, v2
	v_lshlrev_b32_e32 v0, 1, v0
	v_lshl_add_u64 v[4:5], v[2:3], 3, v[42:43]
	v_lshlrev_b32_e32 v41, 1, v2
	s_mov_b64 s[2:3], -1
	s_mov_b64 s[0:1], s[34:35]
	flat_store_dwordx2 v[4:5], v[0:1] offset:8
	s_and_saveexec_b64 s[48:49], s[54:55]
	s_cbranch_execz .LBB6_1383
; %bb.1177:
	s_mov_b64 s[0:1], src_private_base
	s_getpc_b64 s[2:3]
	s_add_u32 s2, s2, _ZN3sop12sopFactorRecEPNS_3SopEiP7VecsMemIjLi8192EEPN8subgUtil4SubgILi256EEE@rel32@lo+4
	s_addc_u32 s3, s3, _ZN3sop12sopFactorRecEPNS_3SopEiP7VecsMemIjLi8192EEPN8subgUtil4SubgILi256EEE@rel32@hi+12
	s_add_i32 s0, s33, 56
	s_mov_b64 s[8:9], s[64:65]
	v_mov_b32_e32 v0, s0
	v_mov_b32_e32 v1, s1
	;; [unrolled: 1-line block ×7, first 2 shown]
	s_swappc_b64 s[30:31], s[2:3]
	flat_load_dword v1, v[42:43]
	s_movk_i32 s0, 0xff
	s_mov_b64 s[22:23], s[34:35]
	s_waitcnt vmcnt(0) lgkmcnt(0)
	v_cmp_lt_i32_e32 vcc, s0, v1
	s_and_saveexec_b64 s[0:1], vcc
	s_xor_b64 s[24:25], exec, s[0:1]
	s_cbranch_execz .LBB6_1179
; %bb.1178:
	s_getpc_b64 s[0:1]
	s_add_u32 s0, s0, .str.43@rel32@lo+4
	s_addc_u32 s1, s1, .str.43@rel32@hi+12
	s_getpc_b64 s[2:3]
	s_add_u32 s2, s2, .str.44@rel32@lo+4
	s_addc_u32 s3, s3, .str.44@rel32@hi+12
	s_getpc_b64 s[4:5]
	s_add_u32 s4, s4, __PRETTY_FUNCTION__._ZN8subgUtil4SubgILi256EE9addNodeOrEii@rel32@lo+4
	s_addc_u32 s5, s5, __PRETTY_FUNCTION__._ZN8subgUtil4SubgILi256EE9addNodeOrEii@rel32@hi+12
	s_getpc_b64 s[6:7]
	s_add_u32 s6, s6, __assert_fail@rel32@lo+4
	s_addc_u32 s7, s7, __assert_fail@rel32@hi+12
	s_mov_b64 s[8:9], s[64:65]
	v_mov_b32_e32 v0, s0
	v_mov_b32_e32 v1, s1
	v_mov_b32_e32 v2, s2
	v_mov_b32_e32 v3, s3
	v_mov_b32_e32 v4, 0x47
	v_mov_b32_e32 v5, s4
	v_mov_b32_e32 v6, s5
	s_swappc_b64 s[30:31], s[6:7]
	s_or_b64 s[22:23], s[34:35], exec
                                        ; implicit-def: $vgpr0
                                        ; implicit-def: $vgpr41
                                        ; implicit-def: $vgpr42_vgpr43
.LBB6_1179:
	s_or_saveexec_b64 s[24:25], s[24:25]
	s_mov_b64 s[2:3], 0
	s_xor_b64 exec, exec, s[24:25]
	s_cbranch_execz .LBB6_1382
; %bb.1180:
	v_max_i32_e32 v4, v41, v0
	v_min_i32_e32 v39, v41, v0
	v_xor_b32_e32 v1, 1, v39
	v_xor_b32_e32 v38, 1, v4
	v_cmp_gt_i32_e64 s[0:1], v1, v38
	s_and_saveexec_b64 s[4:5], s[0:1]
	s_cbranch_execz .LBB6_1377
; %bb.1181:
	s_load_dwordx2 s[6:7], s[64:65], 0x50
	v_mbcnt_lo_u32_b32 v2, -1, 0
	v_mbcnt_hi_u32_b32 v5, -1, v2
	v_mov_b64_e32 v[2:3], 0
	v_readfirstlane_b32 s2, v5
	s_nop 1
	v_cmp_eq_u32_e64 s[2:3], s2, v5
	s_and_saveexec_b64 s[8:9], s[2:3]
	s_cbranch_execz .LBB6_1187
; %bb.1182:
	v_mov_b32_e32 v6, 0
	s_waitcnt lgkmcnt(0)
	global_load_dwordx2 v[10:11], v6, s[6:7] offset:24 sc0 sc1
	s_waitcnt vmcnt(0)
	buffer_inv sc0 sc1
	global_load_dwordx2 v[2:3], v6, s[6:7] offset:40
	global_load_dwordx2 v[8:9], v6, s[6:7]
	s_waitcnt vmcnt(1)
	v_and_b32_e32 v2, v2, v10
	v_and_b32_e32 v3, v3, v11
	v_mul_lo_u32 v3, v3, 24
	v_mul_hi_u32 v7, v2, 24
	v_add_u32_e32 v3, v7, v3
	v_mul_lo_u32 v2, v2, 24
	s_waitcnt vmcnt(0)
	v_lshl_add_u64 v[2:3], v[8:9], 0, v[2:3]
	global_load_dwordx2 v[8:9], v[2:3], off sc0 sc1
	s_waitcnt vmcnt(0)
	global_atomic_cmpswap_x2 v[2:3], v6, v[8:11], s[6:7] offset:24 sc0 sc1
	s_waitcnt vmcnt(0)
	buffer_inv sc0 sc1
	v_cmp_ne_u64_e32 vcc, v[2:3], v[10:11]
	s_and_saveexec_b64 s[10:11], vcc
	s_cbranch_execz .LBB6_1186
; %bb.1183:
	s_mov_b64 s[12:13], 0
.LBB6_1184:                             ; =>This Inner Loop Header: Depth=1
	s_sleep 1
	global_load_dwordx2 v[8:9], v6, s[6:7] offset:40
	global_load_dwordx2 v[12:13], v6, s[6:7]
	v_mov_b64_e32 v[10:11], v[2:3]
	s_waitcnt vmcnt(1)
	v_and_b32_e32 v2, v8, v10
	s_waitcnt vmcnt(0)
	v_mad_u64_u32 v[2:3], s[14:15], v2, 24, v[12:13]
	v_and_b32_e32 v7, v9, v11
	v_mov_b32_e32 v8, v3
	v_mad_u64_u32 v[8:9], s[14:15], v7, 24, v[8:9]
	v_mov_b32_e32 v3, v8
	global_load_dwordx2 v[8:9], v[2:3], off sc0 sc1
	s_waitcnt vmcnt(0)
	global_atomic_cmpswap_x2 v[2:3], v6, v[8:11], s[6:7] offset:24 sc0 sc1
	s_waitcnt vmcnt(0)
	buffer_inv sc0 sc1
	v_cmp_eq_u64_e32 vcc, v[2:3], v[10:11]
	s_or_b64 s[12:13], vcc, s[12:13]
	s_andn2_b64 exec, exec, s[12:13]
	s_cbranch_execnz .LBB6_1184
; %bb.1185:
	s_or_b64 exec, exec, s[12:13]
.LBB6_1186:
	s_or_b64 exec, exec, s[10:11]
.LBB6_1187:
	s_or_b64 exec, exec, s[8:9]
	v_mov_b32_e32 v33, 0
	s_waitcnt lgkmcnt(0)
	global_load_dwordx2 v[10:11], v33, s[6:7] offset:40
	global_load_dwordx4 v[6:9], v33, s[6:7]
	v_readfirstlane_b32 s9, v3
	v_readfirstlane_b32 s8, v2
	s_mov_b64 s[10:11], exec
	s_waitcnt vmcnt(1)
	v_readfirstlane_b32 s12, v10
	v_readfirstlane_b32 s13, v11
	s_and_b64 s[12:13], s[12:13], s[8:9]
	s_mul_i32 s14, s13, 24
	s_mul_hi_u32 s15, s12, 24
	s_add_i32 s15, s15, s14
	s_mul_i32 s14, s12, 24
	s_waitcnt vmcnt(0)
	v_lshl_add_u64 v[2:3], v[6:7], 0, s[14:15]
	s_and_saveexec_b64 s[14:15], s[2:3]
	s_cbranch_execz .LBB6_1189
; %bb.1188:
	v_mov_b64_e32 v[10:11], s[10:11]
	v_mov_b32_e32 v12, 2
	v_mov_b32_e32 v13, 1
	global_store_dwordx4 v[2:3], v[10:13], off offset:8
.LBB6_1189:
	s_or_b64 exec, exec, s[14:15]
	s_lshl_b64 s[10:11], s[12:13], 12
	v_lshl_add_u64 v[10:11], v[8:9], 0, s[10:11]
	s_mov_b32 s12, 0
	v_lshlrev_b32_e32 v32, 6, v5
	v_mov_b32_e32 v12, 33
	v_mov_b32_e32 v13, v33
	;; [unrolled: 1-line block ×4, first 2 shown]
	v_readfirstlane_b32 s10, v10
	v_readfirstlane_b32 s11, v11
	s_mov_b32 s13, s12
	s_mov_b32 s14, s12
	;; [unrolled: 1-line block ×3, first 2 shown]
	s_nop 1
	global_store_dwordx4 v32, v[12:15], s[10:11]
	s_nop 1
	v_mov_b64_e32 v[12:13], s[12:13]
	v_mov_b64_e32 v[14:15], s[14:15]
	global_store_dwordx4 v32, v[12:15], s[10:11] offset:16
	global_store_dwordx4 v32, v[12:15], s[10:11] offset:32
	;; [unrolled: 1-line block ×3, first 2 shown]
	s_and_saveexec_b64 s[10:11], s[2:3]
	s_cbranch_execz .LBB6_1197
; %bb.1190:
	v_mov_b32_e32 v14, 0
	global_load_dwordx2 v[18:19], v14, s[6:7] offset:32 sc0 sc1
	global_load_dwordx2 v[8:9], v14, s[6:7] offset:40
	v_mov_b32_e32 v16, s8
	v_mov_b32_e32 v17, s9
	s_waitcnt vmcnt(0)
	v_and_b32_e32 v8, s8, v8
	v_and_b32_e32 v9, s9, v9
	v_mul_lo_u32 v9, v9, 24
	v_mul_hi_u32 v12, v8, 24
	v_mul_lo_u32 v8, v8, 24
	v_add_u32_e32 v9, v12, v9
	v_lshl_add_u64 v[12:13], v[6:7], 0, v[8:9]
	global_store_dwordx2 v[12:13], v[18:19], off
	buffer_wbl2 sc0 sc1
	s_waitcnt vmcnt(0)
	global_atomic_cmpswap_x2 v[8:9], v14, v[16:19], s[6:7] offset:32 sc0 sc1
	s_waitcnt vmcnt(0)
	v_cmp_ne_u64_e32 vcc, v[8:9], v[18:19]
	s_and_saveexec_b64 s[12:13], vcc
	s_cbranch_execz .LBB6_1193
; %bb.1191:
	s_mov_b64 s[14:15], 0
.LBB6_1192:                             ; =>This Inner Loop Header: Depth=1
	s_sleep 1
	global_store_dwordx2 v[12:13], v[8:9], off
	v_mov_b32_e32 v6, s8
	v_mov_b32_e32 v7, s9
	buffer_wbl2 sc0 sc1
	s_waitcnt vmcnt(0)
	global_atomic_cmpswap_x2 v[6:7], v14, v[6:9], s[6:7] offset:32 sc0 sc1
	s_waitcnt vmcnt(0)
	v_cmp_eq_u64_e32 vcc, v[6:7], v[8:9]
	s_or_b64 s[14:15], vcc, s[14:15]
	v_mov_b64_e32 v[8:9], v[6:7]
	s_andn2_b64 exec, exec, s[14:15]
	s_cbranch_execnz .LBB6_1192
.LBB6_1193:
	s_or_b64 exec, exec, s[12:13]
	v_mov_b32_e32 v9, 0
	global_load_dwordx2 v[6:7], v9, s[6:7] offset:16
	s_mov_b64 s[12:13], exec
	v_mbcnt_lo_u32_b32 v8, s12, 0
	v_mbcnt_hi_u32_b32 v8, s13, v8
	v_cmp_eq_u32_e32 vcc, 0, v8
	s_and_saveexec_b64 s[14:15], vcc
	s_cbranch_execz .LBB6_1195
; %bb.1194:
	s_bcnt1_i32_b64 s12, s[12:13]
	v_mov_b32_e32 v8, s12
	buffer_wbl2 sc0 sc1
	s_waitcnt vmcnt(0)
	global_atomic_add_x2 v[6:7], v[8:9], off offset:8 sc1
.LBB6_1195:
	s_or_b64 exec, exec, s[14:15]
	s_waitcnt vmcnt(0)
	global_load_dwordx2 v[8:9], v[6:7], off offset:16
	s_waitcnt vmcnt(0)
	v_cmp_eq_u64_e32 vcc, 0, v[8:9]
	s_cbranch_vccnz .LBB6_1197
; %bb.1196:
	global_load_dword v6, v[6:7], off offset:24
	v_mov_b32_e32 v7, 0
	s_waitcnt vmcnt(0)
	v_readfirstlane_b32 s12, v6
	s_and_b32 m0, s12, 0xffffff
	buffer_wbl2 sc0 sc1
	global_store_dwordx2 v[8:9], v[6:7], off sc0 sc1
	s_sendmsg sendmsg(MSG_INTERRUPT)
.LBB6_1197:
	s_or_b64 exec, exec, s[10:11]
	v_lshl_add_u64 v[6:7], v[10:11], 0, v[32:33]
	s_branch .LBB6_1201
.LBB6_1198:                             ;   in Loop: Header=BB6_1201 Depth=1
	s_or_b64 exec, exec, s[10:11]
	v_readfirstlane_b32 s10, v8
	s_cmp_eq_u32 s10, 0
	s_cbranch_scc1 .LBB6_1200
; %bb.1199:                             ;   in Loop: Header=BB6_1201 Depth=1
	s_sleep 1
	s_cbranch_execnz .LBB6_1201
	s_branch .LBB6_1203
.LBB6_1200:
	s_branch .LBB6_1203
.LBB6_1201:                             ; =>This Inner Loop Header: Depth=1
	v_mov_b32_e32 v8, 1
	s_and_saveexec_b64 s[10:11], s[2:3]
	s_cbranch_execz .LBB6_1198
; %bb.1202:                             ;   in Loop: Header=BB6_1201 Depth=1
	global_load_dword v8, v[2:3], off offset:20 sc0 sc1
	s_waitcnt vmcnt(0)
	buffer_inv sc0 sc1
	v_and_b32_e32 v8, 1, v8
	s_branch .LBB6_1198
.LBB6_1203:
	global_load_dwordx2 v[6:7], v[6:7], off
	s_and_saveexec_b64 s[10:11], s[2:3]
	s_cbranch_execz .LBB6_1206
; %bb.1204:
	v_mov_b32_e32 v12, 0
	global_load_dwordx2 v[2:3], v12, s[6:7] offset:40
	global_load_dwordx2 v[16:17], v12, s[6:7] offset:24 sc0 sc1
	global_load_dwordx2 v[8:9], v12, s[6:7]
	s_waitcnt vmcnt(2)
	v_readfirstlane_b32 s12, v2
	v_readfirstlane_b32 s13, v3
	s_add_u32 s14, s12, 1
	s_addc_u32 s15, s13, 0
	s_add_u32 s2, s14, s8
	s_addc_u32 s3, s15, s9
	s_cmp_eq_u64 s[2:3], 0
	s_cselect_b32 s3, s15, s3
	s_cselect_b32 s2, s14, s2
	s_and_b64 s[8:9], s[2:3], s[12:13]
	s_mul_i32 s9, s9, 24
	s_mul_hi_u32 s12, s8, 24
	s_mul_i32 s8, s8, 24
	s_add_i32 s9, s12, s9
	s_waitcnt vmcnt(0)
	v_lshl_add_u64 v[2:3], v[8:9], 0, s[8:9]
	v_mov_b32_e32 v14, s2
	global_store_dwordx2 v[2:3], v[16:17], off
	v_mov_b32_e32 v15, s3
	buffer_wbl2 sc0 sc1
	s_waitcnt vmcnt(0)
	global_atomic_cmpswap_x2 v[10:11], v12, v[14:17], s[6:7] offset:24 sc0 sc1
	s_mov_b64 s[8:9], 0
	s_waitcnt vmcnt(0)
	v_cmp_ne_u64_e32 vcc, v[10:11], v[16:17]
	s_and_b64 exec, exec, vcc
	s_cbranch_execz .LBB6_1206
.LBB6_1205:                             ; =>This Inner Loop Header: Depth=1
	s_sleep 1
	global_store_dwordx2 v[2:3], v[10:11], off
	v_mov_b32_e32 v8, s2
	v_mov_b32_e32 v9, s3
	buffer_wbl2 sc0 sc1
	s_waitcnt vmcnt(0)
	global_atomic_cmpswap_x2 v[8:9], v12, v[8:11], s[6:7] offset:24 sc0 sc1
	s_waitcnt vmcnt(0)
	v_cmp_eq_u64_e32 vcc, v[8:9], v[10:11]
	s_or_b64 s[8:9], vcc, s[8:9]
	v_mov_b64_e32 v[10:11], v[8:9]
	s_andn2_b64 exec, exec, s[8:9]
	s_cbranch_execnz .LBB6_1205
.LBB6_1206:
	s_or_b64 exec, exec, s[10:11]
	s_getpc_b64 s[8:9]
	s_add_u32 s8, s8, .str.45@rel32@lo+4
	s_addc_u32 s9, s9, .str.45@rel32@hi+12
	s_cmp_lg_u64 s[8:9], 0
	s_cbranch_scc0 .LBB6_1299
; %bb.1207:
	s_waitcnt vmcnt(0)
	v_and_b32_e32 v2, 2, v6
	v_mov_b32_e32 v35, 0
	v_and_b32_e32 v8, -3, v6
	v_mov_b32_e32 v9, v7
	s_mov_b64 s[10:11], 7
	v_mov_b32_e32 v14, 2
	v_mov_b32_e32 v15, 1
	s_branch .LBB6_1209
.LBB6_1208:                             ;   in Loop: Header=BB6_1209 Depth=1
	s_or_b64 exec, exec, s[16:17]
	s_sub_u32 s10, s10, s12
	s_subb_u32 s11, s11, s13
	s_add_u32 s8, s8, s12
	s_addc_u32 s9, s9, s13
	s_cmp_lg_u64 s[10:11], 0
	s_cbranch_scc0 .LBB6_1298
.LBB6_1209:                             ; =>This Loop Header: Depth=1
                                        ;     Child Loop BB6_1212 Depth 2
                                        ;     Child Loop BB6_1221 Depth 2
                                        ;     Child Loop BB6_1230 Depth 2
                                        ;     Child Loop BB6_1239 Depth 2
                                        ;     Child Loop BB6_1248 Depth 2
                                        ;     Child Loop BB6_1257 Depth 2
                                        ;     Child Loop BB6_1266 Depth 2
                                        ;     Child Loop BB6_1275 Depth 2
                                        ;     Child Loop BB6_1283 Depth 2
                                        ;     Child Loop BB6_1292 Depth 2
                                        ;     Child Loop BB6_1297 Depth 2
	v_cmp_lt_u64_e64 s[2:3], s[10:11], 56
	s_and_b64 s[2:3], s[2:3], exec
	s_cselect_b32 s13, s11, 0
	s_cselect_b32 s12, s10, 56
	v_cmp_gt_u64_e64 s[14:15], s[10:11], 7
	s_add_u32 s2, s8, 8
	s_addc_u32 s3, s9, 0
	s_and_b64 vcc, exec, s[14:15]
	s_cbranch_vccnz .LBB6_1213
; %bb.1210:                             ;   in Loop: Header=BB6_1209 Depth=1
	s_cmp_eq_u64 s[10:11], 0
	s_cbranch_scc1 .LBB6_1214
; %bb.1211:                             ;   in Loop: Header=BB6_1209 Depth=1
	s_lshl_b64 s[2:3], s[12:13], 3
	s_mov_b64 s[14:15], 0
	v_mov_b64_e32 v[10:11], 0
	s_mov_b64 s[16:17], s[8:9]
.LBB6_1212:                             ;   Parent Loop BB6_1209 Depth=1
                                        ; =>  This Inner Loop Header: Depth=2
	global_load_ubyte v3, v35, s[16:17]
	s_waitcnt vmcnt(0)
	v_and_b32_e32 v34, 0xffff, v3
	v_lshlrev_b64 v[12:13], s14, v[34:35]
	s_add_u32 s14, s14, 8
	s_addc_u32 s15, s15, 0
	s_add_u32 s16, s16, 1
	s_addc_u32 s17, s17, 0
	v_or_b32_e32 v10, v12, v10
	s_cmp_lg_u32 s2, s14
	v_or_b32_e32 v11, v13, v11
	s_cbranch_scc1 .LBB6_1212
	s_branch .LBB6_1215
.LBB6_1213:                             ;   in Loop: Header=BB6_1209 Depth=1
	s_mov_b64 s[14:15], -1
	s_branch .LBB6_1216
.LBB6_1214:                             ;   in Loop: Header=BB6_1209 Depth=1
	v_mov_b64_e32 v[10:11], 0
.LBB6_1215:                             ;   in Loop: Header=BB6_1209 Depth=1
	s_mov_b64 s[14:15], 0
	s_mov_b64 s[2:3], s[8:9]
.LBB6_1216:                             ;   in Loop: Header=BB6_1209 Depth=1
	s_andn2_b64 vcc, exec, s[14:15]
	s_mov_b32 s18, 0
	s_cbranch_vccnz .LBB6_1218
; %bb.1217:                             ;   in Loop: Header=BB6_1209 Depth=1
	global_load_dwordx2 v[10:11], v35, s[8:9]
	s_add_i32 s18, s12, -8
.LBB6_1218:                             ;   in Loop: Header=BB6_1209 Depth=1
	s_add_u32 s14, s2, 8
	s_addc_u32 s15, s3, 0
	s_cmp_gt_u32 s18, 7
	s_cbranch_scc1 .LBB6_1222
; %bb.1219:                             ;   in Loop: Header=BB6_1209 Depth=1
	s_cmp_eq_u32 s18, 0
	s_cbranch_scc1 .LBB6_1223
; %bb.1220:                             ;   in Loop: Header=BB6_1209 Depth=1
	s_mov_b64 s[14:15], 0
	v_mov_b64_e32 v[16:17], 0
	s_mov_b64 s[16:17], 0
.LBB6_1221:                             ;   Parent Loop BB6_1209 Depth=1
                                        ; =>  This Inner Loop Header: Depth=2
	s_add_u32 s20, s2, s16
	s_addc_u32 s21, s3, s17
	global_load_ubyte v3, v35, s[20:21]
	s_add_u32 s16, s16, 1
	s_addc_u32 s17, s17, 0
	s_waitcnt vmcnt(0)
	v_and_b32_e32 v34, 0xffff, v3
	v_lshlrev_b64 v[12:13], s14, v[34:35]
	s_add_u32 s14, s14, 8
	s_addc_u32 s15, s15, 0
	v_or_b32_e32 v16, v12, v16
	s_cmp_lg_u32 s18, s16
	v_or_b32_e32 v17, v13, v17
	s_cbranch_scc1 .LBB6_1221
	s_branch .LBB6_1224
.LBB6_1222:                             ;   in Loop: Header=BB6_1209 Depth=1
	s_mov_b64 s[16:17], -1
                                        ; implicit-def: $vgpr16_vgpr17
	s_branch .LBB6_1225
.LBB6_1223:                             ;   in Loop: Header=BB6_1209 Depth=1
	v_mov_b64_e32 v[16:17], 0
.LBB6_1224:                             ;   in Loop: Header=BB6_1209 Depth=1
	s_mov_b64 s[16:17], 0
	s_mov_b64 s[14:15], s[2:3]
.LBB6_1225:                             ;   in Loop: Header=BB6_1209 Depth=1
	s_andn2_b64 vcc, exec, s[16:17]
	s_mov_b32 s19, 0
	s_cbranch_vccnz .LBB6_1227
; %bb.1226:                             ;   in Loop: Header=BB6_1209 Depth=1
	global_load_dwordx2 v[16:17], v35, s[2:3]
	s_add_i32 s19, s18, -8
.LBB6_1227:                             ;   in Loop: Header=BB6_1209 Depth=1
	s_add_u32 s2, s14, 8
	s_addc_u32 s3, s15, 0
	s_cmp_gt_u32 s19, 7
	s_cbranch_scc1 .LBB6_1231
; %bb.1228:                             ;   in Loop: Header=BB6_1209 Depth=1
	s_cmp_eq_u32 s19, 0
	s_cbranch_scc1 .LBB6_1232
; %bb.1229:                             ;   in Loop: Header=BB6_1209 Depth=1
	s_mov_b64 s[2:3], 0
	v_mov_b64_e32 v[18:19], 0
	s_mov_b64 s[16:17], 0
.LBB6_1230:                             ;   Parent Loop BB6_1209 Depth=1
                                        ; =>  This Inner Loop Header: Depth=2
	s_add_u32 s20, s14, s16
	s_addc_u32 s21, s15, s17
	global_load_ubyte v3, v35, s[20:21]
	s_add_u32 s16, s16, 1
	s_addc_u32 s17, s17, 0
	s_waitcnt vmcnt(0)
	v_and_b32_e32 v34, 0xffff, v3
	v_lshlrev_b64 v[12:13], s2, v[34:35]
	s_add_u32 s2, s2, 8
	s_addc_u32 s3, s3, 0
	v_or_b32_e32 v18, v12, v18
	s_cmp_lg_u32 s19, s16
	v_or_b32_e32 v19, v13, v19
	s_cbranch_scc1 .LBB6_1230
	s_branch .LBB6_1233
.LBB6_1231:                             ;   in Loop: Header=BB6_1209 Depth=1
	s_mov_b64 s[16:17], -1
	s_branch .LBB6_1234
.LBB6_1232:                             ;   in Loop: Header=BB6_1209 Depth=1
	v_mov_b64_e32 v[18:19], 0
.LBB6_1233:                             ;   in Loop: Header=BB6_1209 Depth=1
	s_mov_b64 s[16:17], 0
	s_mov_b64 s[2:3], s[14:15]
.LBB6_1234:                             ;   in Loop: Header=BB6_1209 Depth=1
	s_andn2_b64 vcc, exec, s[16:17]
	s_mov_b32 s18, 0
	s_cbranch_vccnz .LBB6_1236
; %bb.1235:                             ;   in Loop: Header=BB6_1209 Depth=1
	global_load_dwordx2 v[18:19], v35, s[14:15]
	s_add_i32 s18, s19, -8
.LBB6_1236:                             ;   in Loop: Header=BB6_1209 Depth=1
	s_add_u32 s14, s2, 8
	s_addc_u32 s15, s3, 0
	s_cmp_gt_u32 s18, 7
	s_cbranch_scc1 .LBB6_1240
; %bb.1237:                             ;   in Loop: Header=BB6_1209 Depth=1
	s_cmp_eq_u32 s18, 0
	s_cbranch_scc1 .LBB6_1241
; %bb.1238:                             ;   in Loop: Header=BB6_1209 Depth=1
	s_mov_b64 s[14:15], 0
	v_mov_b64_e32 v[20:21], 0
	s_mov_b64 s[16:17], 0
.LBB6_1239:                             ;   Parent Loop BB6_1209 Depth=1
                                        ; =>  This Inner Loop Header: Depth=2
	s_add_u32 s20, s2, s16
	s_addc_u32 s21, s3, s17
	global_load_ubyte v3, v35, s[20:21]
	s_add_u32 s16, s16, 1
	s_addc_u32 s17, s17, 0
	s_waitcnt vmcnt(0)
	v_and_b32_e32 v34, 0xffff, v3
	v_lshlrev_b64 v[12:13], s14, v[34:35]
	s_add_u32 s14, s14, 8
	s_addc_u32 s15, s15, 0
	v_or_b32_e32 v20, v12, v20
	s_cmp_lg_u32 s18, s16
	v_or_b32_e32 v21, v13, v21
	s_cbranch_scc1 .LBB6_1239
	s_branch .LBB6_1242
.LBB6_1240:                             ;   in Loop: Header=BB6_1209 Depth=1
	s_mov_b64 s[16:17], -1
                                        ; implicit-def: $vgpr20_vgpr21
	s_branch .LBB6_1243
.LBB6_1241:                             ;   in Loop: Header=BB6_1209 Depth=1
	v_mov_b64_e32 v[20:21], 0
.LBB6_1242:                             ;   in Loop: Header=BB6_1209 Depth=1
	s_mov_b64 s[16:17], 0
	s_mov_b64 s[14:15], s[2:3]
.LBB6_1243:                             ;   in Loop: Header=BB6_1209 Depth=1
	s_andn2_b64 vcc, exec, s[16:17]
	s_mov_b32 s19, 0
	s_cbranch_vccnz .LBB6_1245
; %bb.1244:                             ;   in Loop: Header=BB6_1209 Depth=1
	global_load_dwordx2 v[20:21], v35, s[2:3]
	s_add_i32 s19, s18, -8
.LBB6_1245:                             ;   in Loop: Header=BB6_1209 Depth=1
	s_add_u32 s2, s14, 8
	s_addc_u32 s3, s15, 0
	s_cmp_gt_u32 s19, 7
	s_cbranch_scc1 .LBB6_1249
; %bb.1246:                             ;   in Loop: Header=BB6_1209 Depth=1
	s_cmp_eq_u32 s19, 0
	s_cbranch_scc1 .LBB6_1250
; %bb.1247:                             ;   in Loop: Header=BB6_1209 Depth=1
	s_mov_b64 s[2:3], 0
	v_mov_b64_e32 v[22:23], 0
	s_mov_b64 s[16:17], 0
.LBB6_1248:                             ;   Parent Loop BB6_1209 Depth=1
                                        ; =>  This Inner Loop Header: Depth=2
	s_add_u32 s20, s14, s16
	s_addc_u32 s21, s15, s17
	global_load_ubyte v3, v35, s[20:21]
	s_add_u32 s16, s16, 1
	s_addc_u32 s17, s17, 0
	s_waitcnt vmcnt(0)
	v_and_b32_e32 v34, 0xffff, v3
	v_lshlrev_b64 v[12:13], s2, v[34:35]
	s_add_u32 s2, s2, 8
	s_addc_u32 s3, s3, 0
	v_or_b32_e32 v22, v12, v22
	s_cmp_lg_u32 s19, s16
	v_or_b32_e32 v23, v13, v23
	s_cbranch_scc1 .LBB6_1248
	s_branch .LBB6_1251
.LBB6_1249:                             ;   in Loop: Header=BB6_1209 Depth=1
	s_mov_b64 s[16:17], -1
	s_branch .LBB6_1252
.LBB6_1250:                             ;   in Loop: Header=BB6_1209 Depth=1
	v_mov_b64_e32 v[22:23], 0
.LBB6_1251:                             ;   in Loop: Header=BB6_1209 Depth=1
	s_mov_b64 s[16:17], 0
	s_mov_b64 s[2:3], s[14:15]
.LBB6_1252:                             ;   in Loop: Header=BB6_1209 Depth=1
	s_andn2_b64 vcc, exec, s[16:17]
	s_mov_b32 s18, 0
	s_cbranch_vccnz .LBB6_1254
; %bb.1253:                             ;   in Loop: Header=BB6_1209 Depth=1
	global_load_dwordx2 v[22:23], v35, s[14:15]
	s_add_i32 s18, s19, -8
.LBB6_1254:                             ;   in Loop: Header=BB6_1209 Depth=1
	s_add_u32 s14, s2, 8
	s_addc_u32 s15, s3, 0
	s_cmp_gt_u32 s18, 7
	s_cbranch_scc1 .LBB6_1258
; %bb.1255:                             ;   in Loop: Header=BB6_1209 Depth=1
	s_cmp_eq_u32 s18, 0
	s_cbranch_scc1 .LBB6_1259
; %bb.1256:                             ;   in Loop: Header=BB6_1209 Depth=1
	s_mov_b64 s[14:15], 0
	v_mov_b64_e32 v[24:25], 0
	s_mov_b64 s[16:17], 0
.LBB6_1257:                             ;   Parent Loop BB6_1209 Depth=1
                                        ; =>  This Inner Loop Header: Depth=2
	s_add_u32 s20, s2, s16
	s_addc_u32 s21, s3, s17
	global_load_ubyte v3, v35, s[20:21]
	s_add_u32 s16, s16, 1
	s_addc_u32 s17, s17, 0
	s_waitcnt vmcnt(0)
	v_and_b32_e32 v34, 0xffff, v3
	v_lshlrev_b64 v[12:13], s14, v[34:35]
	s_add_u32 s14, s14, 8
	s_addc_u32 s15, s15, 0
	v_or_b32_e32 v24, v12, v24
	s_cmp_lg_u32 s18, s16
	v_or_b32_e32 v25, v13, v25
	s_cbranch_scc1 .LBB6_1257
	s_branch .LBB6_1260
.LBB6_1258:                             ;   in Loop: Header=BB6_1209 Depth=1
	s_mov_b64 s[16:17], -1
                                        ; implicit-def: $vgpr24_vgpr25
	s_branch .LBB6_1261
.LBB6_1259:                             ;   in Loop: Header=BB6_1209 Depth=1
	v_mov_b64_e32 v[24:25], 0
.LBB6_1260:                             ;   in Loop: Header=BB6_1209 Depth=1
	s_mov_b64 s[16:17], 0
	s_mov_b64 s[14:15], s[2:3]
.LBB6_1261:                             ;   in Loop: Header=BB6_1209 Depth=1
	s_andn2_b64 vcc, exec, s[16:17]
	s_mov_b32 s19, 0
	s_cbranch_vccnz .LBB6_1263
; %bb.1262:                             ;   in Loop: Header=BB6_1209 Depth=1
	global_load_dwordx2 v[24:25], v35, s[2:3]
	s_add_i32 s19, s18, -8
.LBB6_1263:                             ;   in Loop: Header=BB6_1209 Depth=1
	s_cmp_gt_u32 s19, 7
	s_cbranch_scc1 .LBB6_1267
; %bb.1264:                             ;   in Loop: Header=BB6_1209 Depth=1
	s_cmp_eq_u32 s19, 0
	s_cbranch_scc1 .LBB6_1268
; %bb.1265:                             ;   in Loop: Header=BB6_1209 Depth=1
	s_mov_b64 s[2:3], 0
	v_mov_b64_e32 v[26:27], 0
	s_mov_b64 s[16:17], s[14:15]
.LBB6_1266:                             ;   Parent Loop BB6_1209 Depth=1
                                        ; =>  This Inner Loop Header: Depth=2
	global_load_ubyte v3, v35, s[16:17]
	s_add_i32 s19, s19, -1
	s_waitcnt vmcnt(0)
	v_and_b32_e32 v34, 0xffff, v3
	v_lshlrev_b64 v[12:13], s2, v[34:35]
	s_add_u32 s2, s2, 8
	s_addc_u32 s3, s3, 0
	s_add_u32 s16, s16, 1
	s_addc_u32 s17, s17, 0
	v_or_b32_e32 v26, v12, v26
	s_cmp_lg_u32 s19, 0
	v_or_b32_e32 v27, v13, v27
	s_cbranch_scc1 .LBB6_1266
	s_branch .LBB6_1269
.LBB6_1267:                             ;   in Loop: Header=BB6_1209 Depth=1
	s_mov_b64 s[2:3], -1
	s_branch .LBB6_1270
.LBB6_1268:                             ;   in Loop: Header=BB6_1209 Depth=1
	v_mov_b64_e32 v[26:27], 0
.LBB6_1269:                             ;   in Loop: Header=BB6_1209 Depth=1
	s_mov_b64 s[2:3], 0
.LBB6_1270:                             ;   in Loop: Header=BB6_1209 Depth=1
	s_andn2_b64 vcc, exec, s[2:3]
	s_cbranch_vccnz .LBB6_1272
; %bb.1271:                             ;   in Loop: Header=BB6_1209 Depth=1
	global_load_dwordx2 v[26:27], v35, s[14:15]
.LBB6_1272:                             ;   in Loop: Header=BB6_1209 Depth=1
	v_readfirstlane_b32 s2, v5
	v_mov_b64_e32 v[12:13], 0
	s_nop 0
	v_cmp_eq_u32_e64 s[2:3], s2, v5
	s_and_saveexec_b64 s[14:15], s[2:3]
	s_cbranch_execz .LBB6_1278
; %bb.1273:                             ;   in Loop: Header=BB6_1209 Depth=1
	global_load_dwordx2 v[30:31], v35, s[6:7] offset:24 sc0 sc1
	s_waitcnt vmcnt(0)
	buffer_inv sc0 sc1
	global_load_dwordx2 v[12:13], v35, s[6:7] offset:40
	global_load_dwordx2 v[28:29], v35, s[6:7]
	s_waitcnt vmcnt(1)
	v_and_b32_e32 v3, v12, v30
	v_and_b32_e32 v12, v13, v31
	v_mul_lo_u32 v12, v12, 24
	v_mul_hi_u32 v13, v3, 24
	v_add_u32_e32 v13, v13, v12
	v_mul_lo_u32 v12, v3, 24
	s_waitcnt vmcnt(0)
	v_lshl_add_u64 v[12:13], v[28:29], 0, v[12:13]
	global_load_dwordx2 v[28:29], v[12:13], off sc0 sc1
	s_waitcnt vmcnt(0)
	global_atomic_cmpswap_x2 v[12:13], v35, v[28:31], s[6:7] offset:24 sc0 sc1
	s_waitcnt vmcnt(0)
	buffer_inv sc0 sc1
	v_cmp_ne_u64_e32 vcc, v[12:13], v[30:31]
	s_and_saveexec_b64 s[16:17], vcc
	s_cbranch_execz .LBB6_1277
; %bb.1274:                             ;   in Loop: Header=BB6_1209 Depth=1
	s_mov_b64 s[18:19], 0
.LBB6_1275:                             ;   Parent Loop BB6_1209 Depth=1
                                        ; =>  This Inner Loop Header: Depth=2
	s_sleep 1
	global_load_dwordx2 v[28:29], v35, s[6:7] offset:40
	global_load_dwordx2 v[36:37], v35, s[6:7]
	v_mov_b64_e32 v[30:31], v[12:13]
	s_waitcnt vmcnt(1)
	v_and_b32_e32 v12, v28, v30
	s_waitcnt vmcnt(0)
	v_mad_u64_u32 v[12:13], s[20:21], v12, 24, v[36:37]
	v_and_b32_e32 v3, v29, v31
	v_mov_b32_e32 v28, v13
	v_mad_u64_u32 v[28:29], s[20:21], v3, 24, v[28:29]
	v_mov_b32_e32 v13, v28
	global_load_dwordx2 v[28:29], v[12:13], off sc0 sc1
	s_waitcnt vmcnt(0)
	global_atomic_cmpswap_x2 v[12:13], v35, v[28:31], s[6:7] offset:24 sc0 sc1
	s_waitcnt vmcnt(0)
	buffer_inv sc0 sc1
	v_cmp_eq_u64_e32 vcc, v[12:13], v[30:31]
	s_or_b64 s[18:19], vcc, s[18:19]
	s_andn2_b64 exec, exec, s[18:19]
	s_cbranch_execnz .LBB6_1275
; %bb.1276:                             ;   in Loop: Header=BB6_1209 Depth=1
	s_or_b64 exec, exec, s[18:19]
.LBB6_1277:                             ;   in Loop: Header=BB6_1209 Depth=1
	s_or_b64 exec, exec, s[16:17]
.LBB6_1278:                             ;   in Loop: Header=BB6_1209 Depth=1
	s_or_b64 exec, exec, s[14:15]
	global_load_dwordx2 v[36:37], v35, s[6:7] offset:40
	global_load_dwordx4 v[28:31], v35, s[6:7]
	v_readfirstlane_b32 s15, v13
	v_readfirstlane_b32 s14, v12
	s_mov_b64 s[16:17], exec
	s_waitcnt vmcnt(1)
	v_readfirstlane_b32 s18, v36
	v_readfirstlane_b32 s19, v37
	s_and_b64 s[18:19], s[18:19], s[14:15]
	s_mul_i32 s20, s19, 24
	s_mul_hi_u32 s21, s18, 24
	s_add_i32 s21, s21, s20
	s_mul_i32 s20, s18, 24
	s_waitcnt vmcnt(0)
	v_lshl_add_u64 v[36:37], v[28:29], 0, s[20:21]
	s_and_saveexec_b64 s[20:21], s[2:3]
	s_cbranch_execz .LBB6_1280
; %bb.1279:                             ;   in Loop: Header=BB6_1209 Depth=1
	v_mov_b64_e32 v[12:13], s[16:17]
	global_store_dwordx4 v[36:37], v[12:15], off offset:8
.LBB6_1280:                             ;   in Loop: Header=BB6_1209 Depth=1
	s_or_b64 exec, exec, s[20:21]
	s_lshl_b64 s[16:17], s[18:19], 12
	v_lshl_add_u64 v[12:13], v[30:31], 0, s[16:17]
	v_cmp_lt_u64_e64 vcc, s[10:11], 57
	s_lshl_b32 s16, s12, 2
	s_add_i32 s16, s16, 28
	v_cndmask_b32_e32 v3, 0, v2, vcc
	v_and_b32_e32 v8, 0xffffff1f, v8
	s_and_b32 s16, s16, 0x1e0
	v_or_b32_e32 v3, v8, v3
	v_or_b32_e32 v8, s16, v3
	v_readfirstlane_b32 s16, v12
	v_readfirstlane_b32 s17, v13
	s_nop 4
	global_store_dwordx4 v32, v[8:11], s[16:17]
	global_store_dwordx4 v32, v[16:19], s[16:17] offset:16
	global_store_dwordx4 v32, v[20:23], s[16:17] offset:32
	;; [unrolled: 1-line block ×3, first 2 shown]
	s_and_saveexec_b64 s[16:17], s[2:3]
	s_cbranch_execz .LBB6_1288
; %bb.1281:                             ;   in Loop: Header=BB6_1209 Depth=1
	global_load_dwordx2 v[20:21], v35, s[6:7] offset:32 sc0 sc1
	global_load_dwordx2 v[8:9], v35, s[6:7] offset:40
	v_mov_b32_e32 v18, s14
	v_mov_b32_e32 v19, s15
	s_waitcnt vmcnt(0)
	v_readfirstlane_b32 s18, v8
	v_readfirstlane_b32 s19, v9
	s_and_b64 s[18:19], s[18:19], s[14:15]
	s_mul_i32 s19, s19, 24
	s_mul_hi_u32 s20, s18, 24
	s_mul_i32 s18, s18, 24
	s_add_i32 s19, s20, s19
	v_lshl_add_u64 v[16:17], v[28:29], 0, s[18:19]
	global_store_dwordx2 v[16:17], v[20:21], off
	buffer_wbl2 sc0 sc1
	s_waitcnt vmcnt(0)
	global_atomic_cmpswap_x2 v[10:11], v35, v[18:21], s[6:7] offset:32 sc0 sc1
	s_waitcnt vmcnt(0)
	v_cmp_ne_u64_e32 vcc, v[10:11], v[20:21]
	s_and_saveexec_b64 s[18:19], vcc
	s_cbranch_execz .LBB6_1284
; %bb.1282:                             ;   in Loop: Header=BB6_1209 Depth=1
	s_mov_b64 s[20:21], 0
.LBB6_1283:                             ;   Parent Loop BB6_1209 Depth=1
                                        ; =>  This Inner Loop Header: Depth=2
	s_sleep 1
	global_store_dwordx2 v[16:17], v[10:11], off
	v_mov_b32_e32 v8, s14
	v_mov_b32_e32 v9, s15
	buffer_wbl2 sc0 sc1
	s_waitcnt vmcnt(0)
	global_atomic_cmpswap_x2 v[8:9], v35, v[8:11], s[6:7] offset:32 sc0 sc1
	s_waitcnt vmcnt(0)
	v_cmp_eq_u64_e32 vcc, v[8:9], v[10:11]
	s_or_b64 s[20:21], vcc, s[20:21]
	v_mov_b64_e32 v[10:11], v[8:9]
	s_andn2_b64 exec, exec, s[20:21]
	s_cbranch_execnz .LBB6_1283
.LBB6_1284:                             ;   in Loop: Header=BB6_1209 Depth=1
	s_or_b64 exec, exec, s[18:19]
	global_load_dwordx2 v[8:9], v35, s[6:7] offset:16
	s_mov_b64 s[20:21], exec
	v_mbcnt_lo_u32_b32 v3, s20, 0
	v_mbcnt_hi_u32_b32 v3, s21, v3
	v_cmp_eq_u32_e32 vcc, 0, v3
	s_and_saveexec_b64 s[18:19], vcc
	s_cbranch_execz .LBB6_1286
; %bb.1285:                             ;   in Loop: Header=BB6_1209 Depth=1
	s_bcnt1_i32_b64 s20, s[20:21]
	v_mov_b32_e32 v34, s20
	buffer_wbl2 sc0 sc1
	s_waitcnt vmcnt(0)
	global_atomic_add_x2 v[8:9], v[34:35], off offset:8 sc1
.LBB6_1286:                             ;   in Loop: Header=BB6_1209 Depth=1
	s_or_b64 exec, exec, s[18:19]
	s_waitcnt vmcnt(0)
	global_load_dwordx2 v[10:11], v[8:9], off offset:16
	s_waitcnt vmcnt(0)
	v_cmp_eq_u64_e32 vcc, 0, v[10:11]
	s_cbranch_vccnz .LBB6_1288
; %bb.1287:                             ;   in Loop: Header=BB6_1209 Depth=1
	global_load_dword v34, v[8:9], off offset:24
	s_waitcnt vmcnt(0)
	v_readfirstlane_b32 s18, v34
	s_and_b32 m0, s18, 0xffffff
	buffer_wbl2 sc0 sc1
	global_store_dwordx2 v[10:11], v[34:35], off sc0 sc1
	s_sendmsg sendmsg(MSG_INTERRUPT)
.LBB6_1288:                             ;   in Loop: Header=BB6_1209 Depth=1
	s_or_b64 exec, exec, s[16:17]
	v_mov_b32_e32 v33, v35
	v_lshl_add_u64 v[8:9], v[12:13], 0, v[32:33]
	s_branch .LBB6_1292
.LBB6_1289:                             ;   in Loop: Header=BB6_1292 Depth=2
	s_or_b64 exec, exec, s[16:17]
	v_readfirstlane_b32 s16, v3
	s_cmp_eq_u32 s16, 0
	s_cbranch_scc1 .LBB6_1291
; %bb.1290:                             ;   in Loop: Header=BB6_1292 Depth=2
	s_sleep 1
	s_cbranch_execnz .LBB6_1292
	s_branch .LBB6_1294
.LBB6_1291:                             ;   in Loop: Header=BB6_1209 Depth=1
	s_branch .LBB6_1294
.LBB6_1292:                             ;   Parent Loop BB6_1209 Depth=1
                                        ; =>  This Inner Loop Header: Depth=2
	v_mov_b32_e32 v3, 1
	s_and_saveexec_b64 s[16:17], s[2:3]
	s_cbranch_execz .LBB6_1289
; %bb.1293:                             ;   in Loop: Header=BB6_1292 Depth=2
	global_load_dword v3, v[36:37], off offset:20 sc0 sc1
	s_waitcnt vmcnt(0)
	buffer_inv sc0 sc1
	v_and_b32_e32 v3, 1, v3
	s_branch .LBB6_1289
.LBB6_1294:                             ;   in Loop: Header=BB6_1209 Depth=1
	global_load_dwordx2 v[8:9], v[8:9], off
	s_and_saveexec_b64 s[16:17], s[2:3]
	s_cbranch_execz .LBB6_1208
; %bb.1295:                             ;   in Loop: Header=BB6_1209 Depth=1
	global_load_dwordx2 v[10:11], v35, s[6:7] offset:40
	global_load_dwordx2 v[20:21], v35, s[6:7] offset:24 sc0 sc1
	global_load_dwordx2 v[12:13], v35, s[6:7]
	s_waitcnt vmcnt(2)
	v_readfirstlane_b32 s18, v10
	v_readfirstlane_b32 s19, v11
	s_add_u32 s20, s18, 1
	s_addc_u32 s21, s19, 0
	s_add_u32 s2, s20, s14
	s_addc_u32 s3, s21, s15
	s_cmp_eq_u64 s[2:3], 0
	s_cselect_b32 s3, s21, s3
	s_cselect_b32 s2, s20, s2
	s_and_b64 s[14:15], s[2:3], s[18:19]
	s_mul_i32 s15, s15, 24
	s_mul_hi_u32 s18, s14, 24
	s_mul_i32 s14, s14, 24
	s_add_i32 s15, s18, s15
	s_waitcnt vmcnt(0)
	v_lshl_add_u64 v[16:17], v[12:13], 0, s[14:15]
	v_mov_b32_e32 v18, s2
	global_store_dwordx2 v[16:17], v[20:21], off
	v_mov_b32_e32 v19, s3
	buffer_wbl2 sc0 sc1
	s_waitcnt vmcnt(0)
	global_atomic_cmpswap_x2 v[12:13], v35, v[18:21], s[6:7] offset:24 sc0 sc1
	s_waitcnt vmcnt(0)
	v_cmp_ne_u64_e32 vcc, v[12:13], v[20:21]
	s_and_b64 exec, exec, vcc
	s_cbranch_execz .LBB6_1208
; %bb.1296:                             ;   in Loop: Header=BB6_1209 Depth=1
	s_mov_b64 s[14:15], 0
.LBB6_1297:                             ;   Parent Loop BB6_1209 Depth=1
                                        ; =>  This Inner Loop Header: Depth=2
	s_sleep 1
	global_store_dwordx2 v[16:17], v[12:13], off
	v_mov_b32_e32 v10, s2
	v_mov_b32_e32 v11, s3
	buffer_wbl2 sc0 sc1
	s_waitcnt vmcnt(0)
	global_atomic_cmpswap_x2 v[10:11], v35, v[10:13], s[6:7] offset:24 sc0 sc1
	s_waitcnt vmcnt(0)
	v_cmp_eq_u64_e32 vcc, v[10:11], v[12:13]
	s_or_b64 s[14:15], vcc, s[14:15]
	v_mov_b64_e32 v[12:13], v[10:11]
	s_andn2_b64 exec, exec, s[14:15]
	s_cbranch_execnz .LBB6_1297
	s_branch .LBB6_1208
.LBB6_1298:
	s_mov_b64 s[2:3], 0
	s_branch .LBB6_1300
.LBB6_1299:
	s_mov_b64 s[2:3], -1
                                        ; implicit-def: $vgpr8_vgpr9
.LBB6_1300:
	s_and_b64 vcc, exec, s[2:3]
	s_cbranch_vccz .LBB6_1327
; %bb.1301:
	v_readfirstlane_b32 s2, v5
	v_mov_b64_e32 v[2:3], 0
	s_nop 0
	v_cmp_eq_u32_e64 s[2:3], s2, v5
	s_and_saveexec_b64 s[8:9], s[2:3]
	s_cbranch_execz .LBB6_1307
; %bb.1302:
	s_waitcnt vmcnt(0)
	v_mov_b32_e32 v8, 0
	global_load_dwordx2 v[12:13], v8, s[6:7] offset:24 sc0 sc1
	s_waitcnt vmcnt(0)
	buffer_inv sc0 sc1
	global_load_dwordx2 v[2:3], v8, s[6:7] offset:40
	global_load_dwordx2 v[10:11], v8, s[6:7]
	s_waitcnt vmcnt(1)
	v_and_b32_e32 v2, v2, v12
	v_and_b32_e32 v3, v3, v13
	v_mul_lo_u32 v3, v3, 24
	v_mul_hi_u32 v9, v2, 24
	v_add_u32_e32 v3, v9, v3
	v_mul_lo_u32 v2, v2, 24
	s_waitcnt vmcnt(0)
	v_lshl_add_u64 v[2:3], v[10:11], 0, v[2:3]
	global_load_dwordx2 v[10:11], v[2:3], off sc0 sc1
	s_waitcnt vmcnt(0)
	global_atomic_cmpswap_x2 v[2:3], v8, v[10:13], s[6:7] offset:24 sc0 sc1
	s_waitcnt vmcnt(0)
	buffer_inv sc0 sc1
	v_cmp_ne_u64_e32 vcc, v[2:3], v[12:13]
	s_and_saveexec_b64 s[10:11], vcc
	s_cbranch_execz .LBB6_1306
; %bb.1303:
	s_mov_b64 s[12:13], 0
.LBB6_1304:                             ; =>This Inner Loop Header: Depth=1
	s_sleep 1
	global_load_dwordx2 v[10:11], v8, s[6:7] offset:40
	global_load_dwordx2 v[14:15], v8, s[6:7]
	v_mov_b64_e32 v[12:13], v[2:3]
	s_waitcnt vmcnt(1)
	v_and_b32_e32 v2, v10, v12
	s_waitcnt vmcnt(0)
	v_mad_u64_u32 v[2:3], s[14:15], v2, 24, v[14:15]
	v_and_b32_e32 v9, v11, v13
	v_mov_b32_e32 v10, v3
	v_mad_u64_u32 v[10:11], s[14:15], v9, 24, v[10:11]
	v_mov_b32_e32 v3, v10
	global_load_dwordx2 v[10:11], v[2:3], off sc0 sc1
	s_waitcnt vmcnt(0)
	global_atomic_cmpswap_x2 v[2:3], v8, v[10:13], s[6:7] offset:24 sc0 sc1
	s_waitcnt vmcnt(0)
	buffer_inv sc0 sc1
	v_cmp_eq_u64_e32 vcc, v[2:3], v[12:13]
	s_or_b64 s[12:13], vcc, s[12:13]
	s_andn2_b64 exec, exec, s[12:13]
	s_cbranch_execnz .LBB6_1304
; %bb.1305:
	s_or_b64 exec, exec, s[12:13]
.LBB6_1306:
	s_or_b64 exec, exec, s[10:11]
.LBB6_1307:
	s_or_b64 exec, exec, s[8:9]
	v_mov_b32_e32 v33, 0
	global_load_dwordx2 v[8:9], v33, s[6:7] offset:40
	global_load_dwordx4 v[10:13], v33, s[6:7]
	v_readfirstlane_b32 s9, v3
	v_readfirstlane_b32 s8, v2
	s_mov_b64 s[10:11], exec
	s_waitcnt vmcnt(1)
	v_readfirstlane_b32 s12, v8
	v_readfirstlane_b32 s13, v9
	s_and_b64 s[12:13], s[12:13], s[8:9]
	s_mul_i32 s14, s13, 24
	s_mul_hi_u32 s15, s12, 24
	s_add_i32 s15, s15, s14
	s_mul_i32 s14, s12, 24
	s_waitcnt vmcnt(0)
	v_lshl_add_u64 v[2:3], v[10:11], 0, s[14:15]
	s_and_saveexec_b64 s[14:15], s[2:3]
	s_cbranch_execz .LBB6_1309
; %bb.1308:
	v_mov_b64_e32 v[14:15], s[10:11]
	v_mov_b32_e32 v16, 2
	v_mov_b32_e32 v17, 1
	global_store_dwordx4 v[2:3], v[14:17], off offset:8
.LBB6_1309:
	s_or_b64 exec, exec, s[14:15]
	s_lshl_b64 s[10:11], s[12:13], 12
	v_lshl_add_u64 v[12:13], v[12:13], 0, s[10:11]
	s_movk_i32 s10, 0xff1f
	s_mov_b32 s12, 0
	v_and_or_b32 v6, v6, s10, 32
	v_mov_b32_e32 v8, v33
	v_mov_b32_e32 v9, v33
	v_readfirstlane_b32 s10, v12
	v_readfirstlane_b32 s11, v13
	s_mov_b32 s13, s12
	s_mov_b32 s14, s12
	;; [unrolled: 1-line block ×3, first 2 shown]
	s_nop 1
	global_store_dwordx4 v32, v[6:9], s[10:11]
	s_nop 1
	v_mov_b64_e32 v[6:7], s[12:13]
	v_mov_b64_e32 v[8:9], s[14:15]
	global_store_dwordx4 v32, v[6:9], s[10:11] offset:16
	global_store_dwordx4 v32, v[6:9], s[10:11] offset:32
	;; [unrolled: 1-line block ×3, first 2 shown]
	s_and_saveexec_b64 s[10:11], s[2:3]
	s_cbranch_execz .LBB6_1317
; %bb.1310:
	v_mov_b32_e32 v14, 0
	global_load_dwordx2 v[18:19], v14, s[6:7] offset:32 sc0 sc1
	global_load_dwordx2 v[6:7], v14, s[6:7] offset:40
	v_mov_b32_e32 v16, s8
	v_mov_b32_e32 v17, s9
	s_waitcnt vmcnt(0)
	v_readfirstlane_b32 s12, v6
	v_readfirstlane_b32 s13, v7
	s_and_b64 s[12:13], s[12:13], s[8:9]
	s_mul_i32 s13, s13, 24
	s_mul_hi_u32 s14, s12, 24
	s_mul_i32 s12, s12, 24
	s_add_i32 s13, s14, s13
	v_lshl_add_u64 v[10:11], v[10:11], 0, s[12:13]
	global_store_dwordx2 v[10:11], v[18:19], off
	buffer_wbl2 sc0 sc1
	s_waitcnt vmcnt(0)
	global_atomic_cmpswap_x2 v[8:9], v14, v[16:19], s[6:7] offset:32 sc0 sc1
	s_waitcnt vmcnt(0)
	v_cmp_ne_u64_e32 vcc, v[8:9], v[18:19]
	s_and_saveexec_b64 s[12:13], vcc
	s_cbranch_execz .LBB6_1313
; %bb.1311:
	s_mov_b64 s[14:15], 0
.LBB6_1312:                             ; =>This Inner Loop Header: Depth=1
	s_sleep 1
	global_store_dwordx2 v[10:11], v[8:9], off
	v_mov_b32_e32 v6, s8
	v_mov_b32_e32 v7, s9
	buffer_wbl2 sc0 sc1
	s_waitcnt vmcnt(0)
	global_atomic_cmpswap_x2 v[6:7], v14, v[6:9], s[6:7] offset:32 sc0 sc1
	s_waitcnt vmcnt(0)
	v_cmp_eq_u64_e32 vcc, v[6:7], v[8:9]
	s_or_b64 s[14:15], vcc, s[14:15]
	v_mov_b64_e32 v[8:9], v[6:7]
	s_andn2_b64 exec, exec, s[14:15]
	s_cbranch_execnz .LBB6_1312
.LBB6_1313:
	s_or_b64 exec, exec, s[12:13]
	v_mov_b32_e32 v9, 0
	global_load_dwordx2 v[6:7], v9, s[6:7] offset:16
	s_mov_b64 s[12:13], exec
	v_mbcnt_lo_u32_b32 v8, s12, 0
	v_mbcnt_hi_u32_b32 v8, s13, v8
	v_cmp_eq_u32_e32 vcc, 0, v8
	s_and_saveexec_b64 s[14:15], vcc
	s_cbranch_execz .LBB6_1315
; %bb.1314:
	s_bcnt1_i32_b64 s12, s[12:13]
	v_mov_b32_e32 v8, s12
	buffer_wbl2 sc0 sc1
	s_waitcnt vmcnt(0)
	global_atomic_add_x2 v[6:7], v[8:9], off offset:8 sc1
.LBB6_1315:
	s_or_b64 exec, exec, s[14:15]
	s_waitcnt vmcnt(0)
	global_load_dwordx2 v[8:9], v[6:7], off offset:16
	s_waitcnt vmcnt(0)
	v_cmp_eq_u64_e32 vcc, 0, v[8:9]
	s_cbranch_vccnz .LBB6_1317
; %bb.1316:
	global_load_dword v6, v[6:7], off offset:24
	v_mov_b32_e32 v7, 0
	s_waitcnt vmcnt(0)
	v_readfirstlane_b32 s12, v6
	s_and_b32 m0, s12, 0xffffff
	buffer_wbl2 sc0 sc1
	global_store_dwordx2 v[8:9], v[6:7], off sc0 sc1
	s_sendmsg sendmsg(MSG_INTERRUPT)
.LBB6_1317:
	s_or_b64 exec, exec, s[10:11]
	v_lshl_add_u64 v[6:7], v[12:13], 0, v[32:33]
	s_branch .LBB6_1321
.LBB6_1318:                             ;   in Loop: Header=BB6_1321 Depth=1
	s_or_b64 exec, exec, s[10:11]
	v_readfirstlane_b32 s10, v8
	s_cmp_eq_u32 s10, 0
	s_cbranch_scc1 .LBB6_1320
; %bb.1319:                             ;   in Loop: Header=BB6_1321 Depth=1
	s_sleep 1
	s_cbranch_execnz .LBB6_1321
	s_branch .LBB6_1323
.LBB6_1320:
	s_branch .LBB6_1323
.LBB6_1321:                             ; =>This Inner Loop Header: Depth=1
	v_mov_b32_e32 v8, 1
	s_and_saveexec_b64 s[10:11], s[2:3]
	s_cbranch_execz .LBB6_1318
; %bb.1322:                             ;   in Loop: Header=BB6_1321 Depth=1
	global_load_dword v8, v[2:3], off offset:20 sc0 sc1
	s_waitcnt vmcnt(0)
	buffer_inv sc0 sc1
	v_and_b32_e32 v8, 1, v8
	s_branch .LBB6_1318
.LBB6_1323:
	global_load_dwordx2 v[8:9], v[6:7], off
	s_and_saveexec_b64 s[10:11], s[2:3]
	s_cbranch_execz .LBB6_1326
; %bb.1324:
	v_mov_b32_e32 v6, 0
	global_load_dwordx2 v[2:3], v6, s[6:7] offset:40
	global_load_dwordx2 v[14:15], v6, s[6:7] offset:24 sc0 sc1
	global_load_dwordx2 v[10:11], v6, s[6:7]
	s_waitcnt vmcnt(2)
	v_readfirstlane_b32 s12, v2
	v_readfirstlane_b32 s13, v3
	s_add_u32 s14, s12, 1
	s_addc_u32 s15, s13, 0
	s_add_u32 s2, s14, s8
	s_addc_u32 s3, s15, s9
	s_cmp_eq_u64 s[2:3], 0
	s_cselect_b32 s3, s15, s3
	s_cselect_b32 s2, s14, s2
	s_and_b64 s[8:9], s[2:3], s[12:13]
	s_mul_i32 s9, s9, 24
	s_mul_hi_u32 s12, s8, 24
	s_mul_i32 s8, s8, 24
	s_add_i32 s9, s12, s9
	s_waitcnt vmcnt(0)
	v_lshl_add_u64 v[2:3], v[10:11], 0, s[8:9]
	v_mov_b32_e32 v12, s2
	global_store_dwordx2 v[2:3], v[14:15], off
	v_mov_b32_e32 v13, s3
	buffer_wbl2 sc0 sc1
	s_waitcnt vmcnt(0)
	global_atomic_cmpswap_x2 v[12:13], v6, v[12:15], s[6:7] offset:24 sc0 sc1
	s_mov_b64 s[8:9], 0
	s_waitcnt vmcnt(0)
	v_cmp_ne_u64_e32 vcc, v[12:13], v[14:15]
	s_and_b64 exec, exec, vcc
	s_cbranch_execz .LBB6_1326
.LBB6_1325:                             ; =>This Inner Loop Header: Depth=1
	s_sleep 1
	global_store_dwordx2 v[2:3], v[12:13], off
	v_mov_b32_e32 v10, s2
	v_mov_b32_e32 v11, s3
	buffer_wbl2 sc0 sc1
	s_waitcnt vmcnt(0)
	global_atomic_cmpswap_x2 v[10:11], v6, v[10:13], s[6:7] offset:24 sc0 sc1
	s_waitcnt vmcnt(0)
	v_cmp_eq_u64_e32 vcc, v[10:11], v[12:13]
	s_or_b64 s[8:9], vcc, s[8:9]
	v_mov_b64_e32 v[12:13], v[10:11]
	s_andn2_b64 exec, exec, s[8:9]
	s_cbranch_execnz .LBB6_1325
.LBB6_1326:
	s_or_b64 exec, exec, s[10:11]
.LBB6_1327:
	v_readfirstlane_b32 s2, v5
	v_mov_b64_e32 v[2:3], 0
	s_nop 0
	v_cmp_eq_u32_e64 s[2:3], s2, v5
	s_and_saveexec_b64 s[8:9], s[2:3]
	s_cbranch_execz .LBB6_1333
; %bb.1328:
	s_waitcnt vmcnt(0)
	v_mov_b32_e32 v6, 0
	global_load_dwordx2 v[12:13], v6, s[6:7] offset:24 sc0 sc1
	s_waitcnt vmcnt(0)
	buffer_inv sc0 sc1
	global_load_dwordx2 v[2:3], v6, s[6:7] offset:40
	global_load_dwordx2 v[10:11], v6, s[6:7]
	s_waitcnt vmcnt(1)
	v_and_b32_e32 v2, v2, v12
	v_and_b32_e32 v3, v3, v13
	v_mul_lo_u32 v3, v3, 24
	v_mul_hi_u32 v7, v2, 24
	v_add_u32_e32 v3, v7, v3
	v_mul_lo_u32 v2, v2, 24
	s_waitcnt vmcnt(0)
	v_lshl_add_u64 v[2:3], v[10:11], 0, v[2:3]
	global_load_dwordx2 v[10:11], v[2:3], off sc0 sc1
	s_waitcnt vmcnt(0)
	global_atomic_cmpswap_x2 v[2:3], v6, v[10:13], s[6:7] offset:24 sc0 sc1
	s_waitcnt vmcnt(0)
	buffer_inv sc0 sc1
	v_cmp_ne_u64_e32 vcc, v[2:3], v[12:13]
	s_and_saveexec_b64 s[10:11], vcc
	s_cbranch_execz .LBB6_1332
; %bb.1329:
	s_mov_b64 s[12:13], 0
.LBB6_1330:                             ; =>This Inner Loop Header: Depth=1
	s_sleep 1
	global_load_dwordx2 v[10:11], v6, s[6:7] offset:40
	global_load_dwordx2 v[14:15], v6, s[6:7]
	v_mov_b64_e32 v[12:13], v[2:3]
	s_waitcnt vmcnt(1)
	v_and_b32_e32 v2, v10, v12
	s_waitcnt vmcnt(0)
	v_mad_u64_u32 v[2:3], s[14:15], v2, 24, v[14:15]
	v_and_b32_e32 v7, v11, v13
	v_mov_b32_e32 v10, v3
	v_mad_u64_u32 v[10:11], s[14:15], v7, 24, v[10:11]
	v_mov_b32_e32 v3, v10
	global_load_dwordx2 v[10:11], v[2:3], off sc0 sc1
	s_waitcnt vmcnt(0)
	global_atomic_cmpswap_x2 v[2:3], v6, v[10:13], s[6:7] offset:24 sc0 sc1
	s_waitcnt vmcnt(0)
	buffer_inv sc0 sc1
	v_cmp_eq_u64_e32 vcc, v[2:3], v[12:13]
	s_or_b64 s[12:13], vcc, s[12:13]
	s_andn2_b64 exec, exec, s[12:13]
	s_cbranch_execnz .LBB6_1330
; %bb.1331:
	s_or_b64 exec, exec, s[12:13]
.LBB6_1332:
	s_or_b64 exec, exec, s[10:11]
.LBB6_1333:
	s_or_b64 exec, exec, s[8:9]
	v_mov_b32_e32 v33, 0
	global_load_dwordx2 v[6:7], v33, s[6:7] offset:40
	global_load_dwordx4 v[12:15], v33, s[6:7]
	v_readfirstlane_b32 s9, v3
	v_readfirstlane_b32 s8, v2
	s_mov_b64 s[10:11], exec
	s_waitcnt vmcnt(1)
	v_readfirstlane_b32 s12, v6
	v_readfirstlane_b32 s13, v7
	s_and_b64 s[12:13], s[12:13], s[8:9]
	s_mul_i32 s14, s13, 24
	s_mul_hi_u32 s15, s12, 24
	s_add_i32 s15, s15, s14
	s_mul_i32 s14, s12, 24
	s_waitcnt vmcnt(0)
	v_lshl_add_u64 v[2:3], v[12:13], 0, s[14:15]
	s_and_saveexec_b64 s[14:15], s[2:3]
	s_cbranch_execz .LBB6_1335
; %bb.1334:
	v_mov_b64_e32 v[16:17], s[10:11]
	v_mov_b32_e32 v18, 2
	v_mov_b32_e32 v19, 1
	global_store_dwordx4 v[2:3], v[16:19], off offset:8
.LBB6_1335:
	s_or_b64 exec, exec, s[14:15]
	s_lshl_b64 s[10:11], s[12:13], 12
	v_lshl_add_u64 v[14:15], v[14:15], 0, s[10:11]
	s_movk_i32 s10, 0xff1f
	s_mov_b32 s12, 0
	v_and_or_b32 v8, v8, s10, 32
	v_mov_b32_e32 v10, v39
	v_mov_b32_e32 v11, v33
	v_readfirstlane_b32 s10, v14
	v_readfirstlane_b32 s11, v15
	s_mov_b32 s13, s12
	s_mov_b32 s14, s12
	s_mov_b32 s15, s12
	s_nop 1
	global_store_dwordx4 v32, v[8:11], s[10:11]
	v_mov_b64_e32 v[6:7], s[12:13]
	s_nop 0
	v_mov_b64_e32 v[8:9], s[14:15]
	global_store_dwordx4 v32, v[6:9], s[10:11] offset:16
	global_store_dwordx4 v32, v[6:9], s[10:11] offset:32
	;; [unrolled: 1-line block ×3, first 2 shown]
	s_and_saveexec_b64 s[10:11], s[2:3]
	s_cbranch_execz .LBB6_1343
; %bb.1336:
	v_mov_b32_e32 v16, 0
	global_load_dwordx2 v[20:21], v16, s[6:7] offset:32 sc0 sc1
	global_load_dwordx2 v[6:7], v16, s[6:7] offset:40
	v_mov_b32_e32 v18, s8
	v_mov_b32_e32 v19, s9
	s_waitcnt vmcnt(0)
	v_readfirstlane_b32 s12, v6
	v_readfirstlane_b32 s13, v7
	s_and_b64 s[12:13], s[12:13], s[8:9]
	s_mul_i32 s13, s13, 24
	s_mul_hi_u32 s14, s12, 24
	s_mul_i32 s12, s12, 24
	s_add_i32 s13, s14, s13
	v_lshl_add_u64 v[10:11], v[12:13], 0, s[12:13]
	global_store_dwordx2 v[10:11], v[20:21], off
	buffer_wbl2 sc0 sc1
	s_waitcnt vmcnt(0)
	global_atomic_cmpswap_x2 v[8:9], v16, v[18:21], s[6:7] offset:32 sc0 sc1
	s_waitcnt vmcnt(0)
	v_cmp_ne_u64_e32 vcc, v[8:9], v[20:21]
	s_and_saveexec_b64 s[12:13], vcc
	s_cbranch_execz .LBB6_1339
; %bb.1337:
	s_mov_b64 s[14:15], 0
.LBB6_1338:                             ; =>This Inner Loop Header: Depth=1
	s_sleep 1
	global_store_dwordx2 v[10:11], v[8:9], off
	v_mov_b32_e32 v6, s8
	v_mov_b32_e32 v7, s9
	buffer_wbl2 sc0 sc1
	s_waitcnt vmcnt(0)
	global_atomic_cmpswap_x2 v[6:7], v16, v[6:9], s[6:7] offset:32 sc0 sc1
	s_waitcnt vmcnt(0)
	v_cmp_eq_u64_e32 vcc, v[6:7], v[8:9]
	s_or_b64 s[14:15], vcc, s[14:15]
	v_mov_b64_e32 v[8:9], v[6:7]
	s_andn2_b64 exec, exec, s[14:15]
	s_cbranch_execnz .LBB6_1338
.LBB6_1339:
	s_or_b64 exec, exec, s[12:13]
	v_mov_b32_e32 v9, 0
	global_load_dwordx2 v[6:7], v9, s[6:7] offset:16
	s_mov_b64 s[12:13], exec
	v_mbcnt_lo_u32_b32 v8, s12, 0
	v_mbcnt_hi_u32_b32 v8, s13, v8
	v_cmp_eq_u32_e32 vcc, 0, v8
	s_and_saveexec_b64 s[14:15], vcc
	s_cbranch_execz .LBB6_1341
; %bb.1340:
	s_bcnt1_i32_b64 s12, s[12:13]
	v_mov_b32_e32 v8, s12
	buffer_wbl2 sc0 sc1
	s_waitcnt vmcnt(0)
	global_atomic_add_x2 v[6:7], v[8:9], off offset:8 sc1
.LBB6_1341:
	s_or_b64 exec, exec, s[14:15]
	s_waitcnt vmcnt(0)
	global_load_dwordx2 v[8:9], v[6:7], off offset:16
	s_waitcnt vmcnt(0)
	v_cmp_eq_u64_e32 vcc, 0, v[8:9]
	s_cbranch_vccnz .LBB6_1343
; %bb.1342:
	global_load_dword v6, v[6:7], off offset:24
	v_mov_b32_e32 v7, 0
	s_waitcnt vmcnt(0)
	v_readfirstlane_b32 s12, v6
	s_and_b32 m0, s12, 0xffffff
	buffer_wbl2 sc0 sc1
	global_store_dwordx2 v[8:9], v[6:7], off sc0 sc1
	s_sendmsg sendmsg(MSG_INTERRUPT)
.LBB6_1343:
	s_or_b64 exec, exec, s[10:11]
	v_lshl_add_u64 v[6:7], v[14:15], 0, v[32:33]
	s_branch .LBB6_1347
.LBB6_1344:                             ;   in Loop: Header=BB6_1347 Depth=1
	s_or_b64 exec, exec, s[10:11]
	v_readfirstlane_b32 s10, v8
	s_cmp_eq_u32 s10, 0
	s_cbranch_scc1 .LBB6_1346
; %bb.1345:                             ;   in Loop: Header=BB6_1347 Depth=1
	s_sleep 1
	s_cbranch_execnz .LBB6_1347
	s_branch .LBB6_1349
.LBB6_1346:
	s_branch .LBB6_1349
.LBB6_1347:                             ; =>This Inner Loop Header: Depth=1
	v_mov_b32_e32 v8, 1
	s_and_saveexec_b64 s[10:11], s[2:3]
	s_cbranch_execz .LBB6_1344
; %bb.1348:                             ;   in Loop: Header=BB6_1347 Depth=1
	global_load_dword v8, v[2:3], off offset:20 sc0 sc1
	s_waitcnt vmcnt(0)
	buffer_inv sc0 sc1
	v_and_b32_e32 v8, 1, v8
	s_branch .LBB6_1344
.LBB6_1349:
	global_load_dwordx2 v[2:3], v[6:7], off
	s_and_saveexec_b64 s[10:11], s[2:3]
	s_cbranch_execz .LBB6_1352
; %bb.1350:
	v_mov_b32_e32 v12, 0
	global_load_dwordx2 v[6:7], v12, s[6:7] offset:40
	global_load_dwordx2 v[16:17], v12, s[6:7] offset:24 sc0 sc1
	global_load_dwordx2 v[8:9], v12, s[6:7]
	s_waitcnt vmcnt(2)
	v_readfirstlane_b32 s12, v6
	v_readfirstlane_b32 s13, v7
	s_add_u32 s14, s12, 1
	s_addc_u32 s15, s13, 0
	s_add_u32 s2, s14, s8
	s_addc_u32 s3, s15, s9
	s_cmp_eq_u64 s[2:3], 0
	s_cselect_b32 s3, s15, s3
	s_cselect_b32 s2, s14, s2
	s_and_b64 s[8:9], s[2:3], s[12:13]
	s_mul_i32 s9, s9, 24
	s_mul_hi_u32 s12, s8, 24
	s_mul_i32 s8, s8, 24
	s_add_i32 s9, s12, s9
	s_waitcnt vmcnt(0)
	v_lshl_add_u64 v[10:11], v[8:9], 0, s[8:9]
	v_mov_b32_e32 v14, s2
	global_store_dwordx2 v[10:11], v[16:17], off
	v_mov_b32_e32 v15, s3
	buffer_wbl2 sc0 sc1
	s_waitcnt vmcnt(0)
	global_atomic_cmpswap_x2 v[8:9], v12, v[14:17], s[6:7] offset:24 sc0 sc1
	s_mov_b64 s[8:9], 0
	s_waitcnt vmcnt(0)
	v_cmp_ne_u64_e32 vcc, v[8:9], v[16:17]
	s_and_b64 exec, exec, vcc
	s_cbranch_execz .LBB6_1352
.LBB6_1351:                             ; =>This Inner Loop Header: Depth=1
	s_sleep 1
	global_store_dwordx2 v[10:11], v[8:9], off
	v_mov_b32_e32 v6, s2
	v_mov_b32_e32 v7, s3
	buffer_wbl2 sc0 sc1
	s_waitcnt vmcnt(0)
	global_atomic_cmpswap_x2 v[6:7], v12, v[6:9], s[6:7] offset:24 sc0 sc1
	s_waitcnt vmcnt(0)
	v_cmp_eq_u64_e32 vcc, v[6:7], v[8:9]
	s_or_b64 s[8:9], vcc, s[8:9]
	v_mov_b64_e32 v[8:9], v[6:7]
	s_andn2_b64 exec, exec, s[8:9]
	s_cbranch_execnz .LBB6_1351
.LBB6_1352:
	s_or_b64 exec, exec, s[10:11]
	v_readfirstlane_b32 s2, v5
	v_mov_b64_e32 v[10:11], 0
	s_nop 0
	v_cmp_eq_u32_e64 s[2:3], s2, v5
	s_and_saveexec_b64 s[8:9], s[2:3]
	s_cbranch_execz .LBB6_1358
; %bb.1353:
	v_mov_b32_e32 v5, 0
	global_load_dwordx2 v[8:9], v5, s[6:7] offset:24 sc0 sc1
	s_waitcnt vmcnt(0)
	buffer_inv sc0 sc1
	global_load_dwordx2 v[6:7], v5, s[6:7] offset:40
	global_load_dwordx2 v[10:11], v5, s[6:7]
	s_waitcnt vmcnt(1)
	v_and_b32_e32 v6, v6, v8
	v_and_b32_e32 v7, v7, v9
	v_mul_lo_u32 v7, v7, 24
	v_mul_hi_u32 v12, v6, 24
	v_add_u32_e32 v7, v12, v7
	v_mul_lo_u32 v6, v6, 24
	s_waitcnt vmcnt(0)
	v_lshl_add_u64 v[6:7], v[10:11], 0, v[6:7]
	global_load_dwordx2 v[6:7], v[6:7], off sc0 sc1
	s_waitcnt vmcnt(0)
	global_atomic_cmpswap_x2 v[10:11], v5, v[6:9], s[6:7] offset:24 sc0 sc1
	s_waitcnt vmcnt(0)
	buffer_inv sc0 sc1
	v_cmp_ne_u64_e32 vcc, v[10:11], v[8:9]
	s_and_saveexec_b64 s[10:11], vcc
	s_cbranch_execz .LBB6_1357
; %bb.1354:
	s_mov_b64 s[12:13], 0
.LBB6_1355:                             ; =>This Inner Loop Header: Depth=1
	s_sleep 1
	global_load_dwordx2 v[6:7], v5, s[6:7] offset:40
	global_load_dwordx2 v[12:13], v5, s[6:7]
	v_mov_b64_e32 v[8:9], v[10:11]
	s_waitcnt vmcnt(1)
	v_and_b32_e32 v6, v6, v8
	v_and_b32_e32 v11, v7, v9
	s_waitcnt vmcnt(0)
	v_mad_u64_u32 v[6:7], s[14:15], v6, 24, v[12:13]
	v_mov_b32_e32 v10, v7
	v_mad_u64_u32 v[10:11], s[14:15], v11, 24, v[10:11]
	v_mov_b32_e32 v7, v10
	global_load_dwordx2 v[6:7], v[6:7], off sc0 sc1
	s_waitcnt vmcnt(0)
	global_atomic_cmpswap_x2 v[10:11], v5, v[6:9], s[6:7] offset:24 sc0 sc1
	s_waitcnt vmcnt(0)
	buffer_inv sc0 sc1
	v_cmp_eq_u64_e32 vcc, v[10:11], v[8:9]
	s_or_b64 s[12:13], vcc, s[12:13]
	s_andn2_b64 exec, exec, s[12:13]
	s_cbranch_execnz .LBB6_1355
; %bb.1356:
	s_or_b64 exec, exec, s[12:13]
.LBB6_1357:
	s_or_b64 exec, exec, s[10:11]
.LBB6_1358:
	s_or_b64 exec, exec, s[8:9]
	v_mov_b32_e32 v5, 0
	global_load_dwordx2 v[12:13], v5, s[6:7] offset:40
	global_load_dwordx4 v[6:9], v5, s[6:7]
	v_readfirstlane_b32 s9, v11
	v_readfirstlane_b32 s8, v10
	s_mov_b64 s[10:11], exec
	s_waitcnt vmcnt(1)
	v_readfirstlane_b32 s12, v12
	v_readfirstlane_b32 s13, v13
	s_and_b64 s[12:13], s[12:13], s[8:9]
	s_mul_i32 s14, s13, 24
	s_mul_hi_u32 s15, s12, 24
	s_add_i32 s15, s15, s14
	s_mul_i32 s14, s12, 24
	s_waitcnt vmcnt(0)
	v_lshl_add_u64 v[10:11], v[6:7], 0, s[14:15]
	s_and_saveexec_b64 s[14:15], s[2:3]
	s_cbranch_execz .LBB6_1360
; %bb.1359:
	v_mov_b64_e32 v[12:13], s[10:11]
	v_mov_b32_e32 v14, 2
	v_mov_b32_e32 v15, 1
	global_store_dwordx4 v[10:11], v[12:15], off offset:8
.LBB6_1360:
	s_or_b64 exec, exec, s[14:15]
	s_lshl_b64 s[10:11], s[12:13], 12
	v_lshl_add_u64 v[8:9], v[8:9], 0, s[10:11]
	s_movk_i32 s10, 0xff1d
	s_mov_b32 s12, 0
	v_and_or_b32 v2, v2, s10, 34
	v_readfirstlane_b32 s10, v8
	v_readfirstlane_b32 s11, v9
	s_mov_b32 s13, s12
	s_mov_b32 s14, s12
	;; [unrolled: 1-line block ×3, first 2 shown]
	s_nop 1
	global_store_dwordx4 v32, v[2:5], s[10:11]
	s_nop 1
	v_mov_b64_e32 v[2:3], s[12:13]
	v_mov_b64_e32 v[4:5], s[14:15]
	global_store_dwordx4 v32, v[2:5], s[10:11] offset:16
	global_store_dwordx4 v32, v[2:5], s[10:11] offset:32
	;; [unrolled: 1-line block ×3, first 2 shown]
	s_and_saveexec_b64 s[10:11], s[2:3]
	s_cbranch_execz .LBB6_1368
; %bb.1361:
	v_mov_b32_e32 v8, 0
	global_load_dwordx2 v[14:15], v8, s[6:7] offset:32 sc0 sc1
	global_load_dwordx2 v[2:3], v8, s[6:7] offset:40
	v_mov_b32_e32 v12, s8
	v_mov_b32_e32 v13, s9
	s_waitcnt vmcnt(0)
	v_readfirstlane_b32 s12, v2
	v_readfirstlane_b32 s13, v3
	s_and_b64 s[12:13], s[12:13], s[8:9]
	s_mul_i32 s13, s13, 24
	s_mul_hi_u32 s14, s12, 24
	s_mul_i32 s12, s12, 24
	s_add_i32 s13, s14, s13
	v_lshl_add_u64 v[6:7], v[6:7], 0, s[12:13]
	global_store_dwordx2 v[6:7], v[14:15], off
	buffer_wbl2 sc0 sc1
	s_waitcnt vmcnt(0)
	global_atomic_cmpswap_x2 v[4:5], v8, v[12:15], s[6:7] offset:32 sc0 sc1
	s_waitcnt vmcnt(0)
	v_cmp_ne_u64_e32 vcc, v[4:5], v[14:15]
	s_and_saveexec_b64 s[12:13], vcc
	s_cbranch_execz .LBB6_1364
; %bb.1362:
	s_mov_b64 s[14:15], 0
.LBB6_1363:                             ; =>This Inner Loop Header: Depth=1
	s_sleep 1
	global_store_dwordx2 v[6:7], v[4:5], off
	v_mov_b32_e32 v2, s8
	v_mov_b32_e32 v3, s9
	buffer_wbl2 sc0 sc1
	s_waitcnt vmcnt(0)
	global_atomic_cmpswap_x2 v[2:3], v8, v[2:5], s[6:7] offset:32 sc0 sc1
	s_waitcnt vmcnt(0)
	v_cmp_eq_u64_e32 vcc, v[2:3], v[4:5]
	s_or_b64 s[14:15], vcc, s[14:15]
	v_mov_b64_e32 v[4:5], v[2:3]
	s_andn2_b64 exec, exec, s[14:15]
	s_cbranch_execnz .LBB6_1363
.LBB6_1364:
	s_or_b64 exec, exec, s[12:13]
	v_mov_b32_e32 v5, 0
	global_load_dwordx2 v[2:3], v5, s[6:7] offset:16
	s_mov_b64 s[12:13], exec
	v_mbcnt_lo_u32_b32 v4, s12, 0
	v_mbcnt_hi_u32_b32 v4, s13, v4
	v_cmp_eq_u32_e32 vcc, 0, v4
	s_and_saveexec_b64 s[14:15], vcc
	s_cbranch_execz .LBB6_1366
; %bb.1365:
	s_bcnt1_i32_b64 s12, s[12:13]
	v_mov_b32_e32 v4, s12
	buffer_wbl2 sc0 sc1
	s_waitcnt vmcnt(0)
	global_atomic_add_x2 v[2:3], v[4:5], off offset:8 sc1
.LBB6_1366:
	s_or_b64 exec, exec, s[14:15]
	s_waitcnt vmcnt(0)
	global_load_dwordx2 v[4:5], v[2:3], off offset:16
	s_waitcnt vmcnt(0)
	v_cmp_eq_u64_e32 vcc, 0, v[4:5]
	s_cbranch_vccnz .LBB6_1368
; %bb.1367:
	global_load_dword v2, v[2:3], off offset:24
	v_mov_b32_e32 v3, 0
	s_waitcnt vmcnt(0)
	v_readfirstlane_b32 s12, v2
	s_and_b32 m0, s12, 0xffffff
	buffer_wbl2 sc0 sc1
	global_store_dwordx2 v[4:5], v[2:3], off sc0 sc1
	s_sendmsg sendmsg(MSG_INTERRUPT)
.LBB6_1368:
	s_or_b64 exec, exec, s[10:11]
	s_branch .LBB6_1372
.LBB6_1369:                             ;   in Loop: Header=BB6_1372 Depth=1
	s_or_b64 exec, exec, s[10:11]
	v_readfirstlane_b32 s10, v2
	s_cmp_eq_u32 s10, 0
	s_cbranch_scc1 .LBB6_1371
; %bb.1370:                             ;   in Loop: Header=BB6_1372 Depth=1
	s_sleep 1
	s_cbranch_execnz .LBB6_1372
	s_branch .LBB6_1374
.LBB6_1371:
	s_branch .LBB6_1374
.LBB6_1372:                             ; =>This Inner Loop Header: Depth=1
	v_mov_b32_e32 v2, 1
	s_and_saveexec_b64 s[10:11], s[2:3]
	s_cbranch_execz .LBB6_1369
; %bb.1373:                             ;   in Loop: Header=BB6_1372 Depth=1
	global_load_dword v2, v[10:11], off offset:20 sc0 sc1
	s_waitcnt vmcnt(0)
	buffer_inv sc0 sc1
	v_and_b32_e32 v2, 1, v2
	s_branch .LBB6_1369
.LBB6_1374:
	s_and_b64 exec, exec, s[2:3]
	s_cbranch_execz .LBB6_1377
; %bb.1375:
	v_mov_b32_e32 v8, 0
	global_load_dwordx2 v[2:3], v8, s[6:7] offset:40
	global_load_dwordx2 v[12:13], v8, s[6:7] offset:24 sc0 sc1
	global_load_dwordx2 v[4:5], v8, s[6:7]
	s_waitcnt vmcnt(2)
	v_readfirstlane_b32 s10, v2
	v_readfirstlane_b32 s11, v3
	s_add_u32 s12, s10, 1
	s_addc_u32 s13, s11, 0
	s_add_u32 s2, s12, s8
	s_addc_u32 s3, s13, s9
	s_cmp_eq_u64 s[2:3], 0
	s_cselect_b32 s3, s13, s3
	s_cselect_b32 s2, s12, s2
	s_and_b64 s[8:9], s[2:3], s[10:11]
	s_mul_i32 s9, s9, 24
	s_mul_hi_u32 s10, s8, 24
	s_mul_i32 s8, s8, 24
	s_add_i32 s9, s10, s9
	s_waitcnt vmcnt(0)
	v_lshl_add_u64 v[6:7], v[4:5], 0, s[8:9]
	v_mov_b32_e32 v10, s2
	global_store_dwordx2 v[6:7], v[12:13], off
	v_mov_b32_e32 v11, s3
	buffer_wbl2 sc0 sc1
	s_waitcnt vmcnt(0)
	global_atomic_cmpswap_x2 v[4:5], v8, v[10:13], s[6:7] offset:24 sc0 sc1
	s_mov_b64 s[8:9], 0
	s_waitcnt vmcnt(0)
	v_cmp_ne_u64_e32 vcc, v[4:5], v[12:13]
	s_and_b64 exec, exec, vcc
	s_cbranch_execz .LBB6_1377
.LBB6_1376:                             ; =>This Inner Loop Header: Depth=1
	s_sleep 1
	global_store_dwordx2 v[6:7], v[4:5], off
	v_mov_b32_e32 v2, s2
	v_mov_b32_e32 v3, s3
	buffer_wbl2 sc0 sc1
	s_waitcnt vmcnt(0)
	global_atomic_cmpswap_x2 v[2:3], v8, v[2:5], s[6:7] offset:24 sc0 sc1
	s_waitcnt vmcnt(0)
	v_cmp_eq_u64_e32 vcc, v[2:3], v[4:5]
	s_or_b64 s[8:9], vcc, s[8:9]
	v_mov_b64_e32 v[4:5], v[2:3]
	s_andn2_b64 exec, exec, s[8:9]
	s_cbranch_execnz .LBB6_1376
.LBB6_1377:
	s_or_b64 exec, exec, s[4:5]
	v_or_b32_e32 v0, v0, v41
	v_cmp_lt_i32_e32 vcc, -1, v0
	s_xor_b64 s[0:1], s[0:1], -1
	s_and_b64 s[0:1], vcc, s[0:1]
	s_mov_b64 s[26:27], 0
                                        ; implicit-def: $vgpr41
	s_and_saveexec_b64 s[2:3], s[0:1]
	s_xor_b64 s[0:1], exec, s[2:3]
	s_cbranch_execz .LBB6_1379
; %bb.1378:
	flat_load_dword v2, v[42:43]
	v_lshl_or_b32 v0, v38, 1, 1
	s_mov_b64 s[26:27], exec
	s_waitcnt vmcnt(0) lgkmcnt(0)
	v_ashrrev_i32_e32 v3, 31, v2
	v_add_u32_e32 v4, 1, v2
	flat_store_dword v[42:43], v4
	v_lshl_add_u64 v[4:5], v[2:3], 3, v[42:43]
	flat_store_dwordx2 v[4:5], v[0:1] offset:8
	v_lshl_or_b32 v41, v2, 1, 1
.LBB6_1379:
	s_or_saveexec_b64 s[28:29], s[0:1]
	s_mov_b64 s[0:1], s[22:23]
	s_xor_b64 exec, exec, s[28:29]
	s_cbranch_execz .LBB6_1381
; %bb.1380:
	s_getpc_b64 s[0:1]
	s_add_u32 s0, s0, .str.46@rel32@lo+4
	s_addc_u32 s1, s1, .str.46@rel32@hi+12
	s_getpc_b64 s[2:3]
	s_add_u32 s2, s2, .str.44@rel32@lo+4
	s_addc_u32 s3, s3, .str.44@rel32@hi+12
	s_getpc_b64 s[4:5]
	s_add_u32 s4, s4, __PRETTY_FUNCTION__._ZN8subgUtil18formAndNodeKeyFlagEiii@rel32@lo+4
	s_addc_u32 s5, s5, __PRETTY_FUNCTION__._ZN8subgUtil18formAndNodeKeyFlagEiii@rel32@hi+12
	s_getpc_b64 s[6:7]
	s_add_u32 s6, s6, __assert_fail@rel32@lo+4
	s_addc_u32 s7, s7, __assert_fail@rel32@hi+12
	s_mov_b64 s[8:9], s[64:65]
	v_mov_b32_e32 v0, s0
	v_mov_b32_e32 v1, s1
	;; [unrolled: 1-line block ×7, first 2 shown]
	s_swappc_b64 s[30:31], s[6:7]
	s_or_b64 s[0:1], s[22:23], exec
.LBB6_1381:
	s_or_b64 exec, exec, s[28:29]
	s_andn2_b64 s[2:3], s[22:23], exec
	s_and_b64 s[0:1], s[0:1], exec
	s_or_b64 s[22:23], s[2:3], s[0:1]
	s_and_b64 s[2:3], s[26:27], exec
.LBB6_1382:
	s_or_b64 exec, exec, s[24:25]
	s_andn2_b64 s[0:1], s[34:35], exec
	s_and_b64 s[4:5], s[22:23], exec
	s_or_b64 s[0:1], s[0:1], s[4:5]
	s_orn2_b64 s[2:3], s[2:3], exec
.LBB6_1383:
	s_or_b64 exec, exec, s[48:49]
	s_mov_b64 s[4:5], 0
	s_and_saveexec_b64 s[6:7], s[2:3]
	s_xor_b64 s[2:3], exec, s[6:7]
; %bb.1384:
	s_mov_b64 s[4:5], exec
; %bb.1385:
	s_or_b64 exec, exec, s[2:3]
	s_andn2_b64 s[2:3], s[34:35], exec
	s_and_b64 s[0:1], s[0:1], exec
	s_or_b64 s[24:25], s[2:3], s[0:1]
	s_and_b64 s[22:23], s[4:5], exec
.LBB6_1386:
	s_andn2_saveexec_b64 s[26:27], s[38:39]
	s_cbranch_execz .LBB6_1388
; %bb.1387:
	s_getpc_b64 s[0:1]
	s_add_u32 s0, s0, .str.46@rel32@lo+4
	s_addc_u32 s1, s1, .str.46@rel32@hi+12
	s_getpc_b64 s[2:3]
	s_add_u32 s2, s2, .str.44@rel32@lo+4
	s_addc_u32 s3, s3, .str.44@rel32@hi+12
	s_getpc_b64 s[4:5]
	s_add_u32 s4, s4, __PRETTY_FUNCTION__._ZN8subgUtil18formAndNodeKeyFlagEiii@rel32@lo+4
	s_addc_u32 s5, s5, __PRETTY_FUNCTION__._ZN8subgUtil18formAndNodeKeyFlagEiii@rel32@hi+12
	s_getpc_b64 s[6:7]
	s_add_u32 s6, s6, __assert_fail@rel32@lo+4
	s_addc_u32 s7, s7, __assert_fail@rel32@hi+12
	s_mov_b64 s[8:9], s[64:65]
	v_mov_b32_e32 v0, s0
	v_mov_b32_e32 v1, s1
	;; [unrolled: 1-line block ×7, first 2 shown]
	s_swappc_b64 s[30:31], s[6:7]
	s_or_b64 s[24:25], s[24:25], exec
.LBB6_1388:
	s_or_b64 exec, exec, s[26:27]
	s_andn2_b64 s[0:1], s[34:35], exec
	s_and_b64 s[2:3], s[24:25], exec
	s_or_b64 s[34:35], s[0:1], s[2:3]
	s_and_b64 s[0:1], s[22:23], exec
.LBB6_1389:
	s_or_b64 exec, exec, s[36:37]
	s_andn2_b64 s[2:3], s[96:97], exec
	s_and_b64 s[4:5], s[34:35], exec
	s_or_b64 s[96:97], s[2:3], s[4:5]
	s_and_b64 s[2:3], s[0:1], exec
.LBB6_1390:
	v_readlane_b32 s0, v47, 48
	v_readlane_b32 s1, v47, 49
	s_or_b64 exec, exec, s[0:1]
	s_andn2_b64 s[0:1], s[84:85], exec
	s_and_b64 s[4:5], s[96:97], exec
	s_or_b64 s[84:85], s[0:1], s[4:5]
	s_and_b64 s[2:3], s[2:3], exec
.LBB6_1391:
	v_readlane_b32 s0, v47, 46
	v_readlane_b32 s1, v47, 47
	s_or_b64 exec, exec, s[0:1]
	v_readlane_b32 s0, v47, 6
	v_readlane_b32 s1, v47, 7
	s_andn2_b64 s[0:1], s[0:1], exec
	s_and_b64 s[4:5], s[84:85], exec
	s_or_b64 s[24:25], s[0:1], s[4:5]
	s_and_b64 s[22:23], s[2:3], exec
.LBB6_1392:
	v_readlane_b32 s0, v47, 44
	v_readlane_b32 s1, v47, 45
	s_andn2_saveexec_b64 s[26:27], s[0:1]
	s_cbranch_execz .LBB6_1540
; %bb.1393:
	s_load_dwordx2 s[2:3], s[64:65], 0x50
	v_mbcnt_lo_u32_b32 v0, -1, 0
	v_mbcnt_hi_u32_b32 v32, -1, v0
	v_mov_b64_e32 v[4:5], 0
	v_readfirstlane_b32 s0, v32
	s_nop 1
	v_cmp_eq_u32_e64 s[0:1], s0, v32
	s_and_saveexec_b64 s[4:5], s[0:1]
	s_cbranch_execz .LBB6_1399
; %bb.1394:
	v_mov_b32_e32 v0, 0
	s_waitcnt lgkmcnt(0)
	global_load_dwordx2 v[6:7], v0, s[2:3] offset:24 sc0 sc1
	s_waitcnt vmcnt(0)
	buffer_inv sc0 sc1
	global_load_dwordx2 v[2:3], v0, s[2:3] offset:40
	global_load_dwordx2 v[4:5], v0, s[2:3]
	s_waitcnt vmcnt(1)
	v_and_b32_e32 v1, v2, v6
	v_and_b32_e32 v2, v3, v7
	v_mul_lo_u32 v2, v2, 24
	v_mul_hi_u32 v3, v1, 24
	v_add_u32_e32 v3, v3, v2
	v_mul_lo_u32 v2, v1, 24
	s_waitcnt vmcnt(0)
	v_lshl_add_u64 v[2:3], v[4:5], 0, v[2:3]
	global_load_dwordx2 v[4:5], v[2:3], off sc0 sc1
	s_waitcnt vmcnt(0)
	global_atomic_cmpswap_x2 v[4:5], v0, v[4:7], s[2:3] offset:24 sc0 sc1
	s_waitcnt vmcnt(0)
	buffer_inv sc0 sc1
	v_cmp_ne_u64_e32 vcc, v[4:5], v[6:7]
	s_and_saveexec_b64 s[6:7], vcc
	s_cbranch_execz .LBB6_1398
; %bb.1395:
	s_mov_b64 s[8:9], 0
.LBB6_1396:                             ; =>This Inner Loop Header: Depth=1
	s_sleep 1
	global_load_dwordx2 v[2:3], v0, s[2:3] offset:40
	global_load_dwordx2 v[8:9], v0, s[2:3]
	v_mov_b64_e32 v[6:7], v[4:5]
	s_waitcnt vmcnt(1)
	v_and_b32_e32 v2, v2, v6
	v_and_b32_e32 v1, v3, v7
	s_waitcnt vmcnt(0)
	v_mad_u64_u32 v[2:3], s[10:11], v2, 24, v[8:9]
	v_mov_b32_e32 v4, v3
	v_mad_u64_u32 v[4:5], s[10:11], v1, 24, v[4:5]
	v_mov_b32_e32 v3, v4
	global_load_dwordx2 v[4:5], v[2:3], off sc0 sc1
	s_waitcnt vmcnt(0)
	global_atomic_cmpswap_x2 v[4:5], v0, v[4:7], s[2:3] offset:24 sc0 sc1
	s_waitcnt vmcnt(0)
	buffer_inv sc0 sc1
	v_cmp_eq_u64_e32 vcc, v[4:5], v[6:7]
	s_or_b64 s[8:9], vcc, s[8:9]
	s_andn2_b64 exec, exec, s[8:9]
	s_cbranch_execnz .LBB6_1396
; %bb.1397:
	s_or_b64 exec, exec, s[8:9]
.LBB6_1398:
	s_or_b64 exec, exec, s[6:7]
.LBB6_1399:
	s_or_b64 exec, exec, s[4:5]
	v_mov_b32_e32 v27, 0
	s_waitcnt lgkmcnt(0)
	global_load_dwordx2 v[6:7], v27, s[2:3] offset:40
	global_load_dwordx4 v[0:3], v27, s[2:3]
	v_readfirstlane_b32 s5, v5
	v_readfirstlane_b32 s4, v4
	s_mov_b64 s[6:7], exec
	s_waitcnt vmcnt(0)
	v_readfirstlane_b32 s8, v6
	v_readfirstlane_b32 s9, v7
	s_and_b64 s[8:9], s[8:9], s[4:5]
	s_mul_i32 s10, s9, 24
	s_mul_hi_u32 s11, s8, 24
	s_add_i32 s11, s11, s10
	s_mul_i32 s10, s8, 24
	v_lshl_add_u64 v[4:5], v[0:1], 0, s[10:11]
	s_and_saveexec_b64 s[10:11], s[0:1]
	s_cbranch_execz .LBB6_1401
; %bb.1400:
	v_mov_b64_e32 v[6:7], s[6:7]
	v_mov_b32_e32 v8, 2
	v_mov_b32_e32 v9, 1
	global_store_dwordx4 v[4:5], v[6:9], off offset:8
.LBB6_1401:
	s_or_b64 exec, exec, s[10:11]
	s_lshl_b64 s[6:7], s[8:9], 12
	v_lshl_add_u64 v[6:7], v[2:3], 0, s[6:7]
	s_mov_b32 s8, 0
	v_lshlrev_b32_e32 v26, 6, v32
	v_mov_b32_e32 v8, 33
	v_mov_b32_e32 v9, v27
	v_mov_b32_e32 v10, v27
	v_mov_b32_e32 v11, v27
	v_readfirstlane_b32 s6, v6
	v_readfirstlane_b32 s7, v7
	s_mov_b32 s9, s8
	s_mov_b32 s10, s8
	;; [unrolled: 1-line block ×3, first 2 shown]
	s_nop 1
	global_store_dwordx4 v26, v[8:11], s[6:7]
	s_nop 1
	v_mov_b64_e32 v[8:9], s[8:9]
	v_mov_b64_e32 v[10:11], s[10:11]
	global_store_dwordx4 v26, v[8:11], s[6:7] offset:16
	global_store_dwordx4 v26, v[8:11], s[6:7] offset:32
	;; [unrolled: 1-line block ×3, first 2 shown]
	s_and_saveexec_b64 s[6:7], s[0:1]
	s_cbranch_execz .LBB6_1409
; %bb.1402:
	v_mov_b32_e32 v10, 0
	global_load_dwordx2 v[14:15], v10, s[2:3] offset:32 sc0 sc1
	global_load_dwordx2 v[2:3], v10, s[2:3] offset:40
	v_mov_b32_e32 v12, s4
	v_mov_b32_e32 v13, s5
	s_waitcnt vmcnt(0)
	v_and_b32_e32 v2, s4, v2
	v_and_b32_e32 v3, s5, v3
	v_mul_lo_u32 v3, v3, 24
	v_mul_hi_u32 v8, v2, 24
	v_mul_lo_u32 v2, v2, 24
	v_add_u32_e32 v3, v8, v3
	v_lshl_add_u64 v[8:9], v[0:1], 0, v[2:3]
	global_store_dwordx2 v[8:9], v[14:15], off
	buffer_wbl2 sc0 sc1
	s_waitcnt vmcnt(0)
	global_atomic_cmpswap_x2 v[2:3], v10, v[12:15], s[2:3] offset:32 sc0 sc1
	s_waitcnt vmcnt(0)
	v_cmp_ne_u64_e32 vcc, v[2:3], v[14:15]
	s_and_saveexec_b64 s[8:9], vcc
	s_cbranch_execz .LBB6_1405
; %bb.1403:
	s_mov_b64 s[10:11], 0
.LBB6_1404:                             ; =>This Inner Loop Header: Depth=1
	s_sleep 1
	global_store_dwordx2 v[8:9], v[2:3], off
	v_mov_b32_e32 v0, s4
	v_mov_b32_e32 v1, s5
	buffer_wbl2 sc0 sc1
	s_waitcnt vmcnt(0)
	global_atomic_cmpswap_x2 v[0:1], v10, v[0:3], s[2:3] offset:32 sc0 sc1
	s_waitcnt vmcnt(0)
	v_cmp_eq_u64_e32 vcc, v[0:1], v[2:3]
	s_or_b64 s[10:11], vcc, s[10:11]
	v_mov_b64_e32 v[2:3], v[0:1]
	s_andn2_b64 exec, exec, s[10:11]
	s_cbranch_execnz .LBB6_1404
.LBB6_1405:
	s_or_b64 exec, exec, s[8:9]
	v_mov_b32_e32 v3, 0
	global_load_dwordx2 v[0:1], v3, s[2:3] offset:16
	s_mov_b64 s[8:9], exec
	v_mbcnt_lo_u32_b32 v2, s8, 0
	v_mbcnt_hi_u32_b32 v2, s9, v2
	v_cmp_eq_u32_e32 vcc, 0, v2
	s_and_saveexec_b64 s[10:11], vcc
	s_cbranch_execz .LBB6_1407
; %bb.1406:
	s_bcnt1_i32_b64 s8, s[8:9]
	v_mov_b32_e32 v2, s8
	buffer_wbl2 sc0 sc1
	s_waitcnt vmcnt(0)
	global_atomic_add_x2 v[0:1], v[2:3], off offset:8 sc1
.LBB6_1407:
	s_or_b64 exec, exec, s[10:11]
	s_waitcnt vmcnt(0)
	global_load_dwordx2 v[2:3], v[0:1], off offset:16
	s_waitcnt vmcnt(0)
	v_cmp_eq_u64_e32 vcc, 0, v[2:3]
	s_cbranch_vccnz .LBB6_1409
; %bb.1408:
	global_load_dword v0, v[0:1], off offset:24
	v_mov_b32_e32 v1, 0
	s_waitcnt vmcnt(0)
	v_readfirstlane_b32 s8, v0
	s_and_b32 m0, s8, 0xffffff
	buffer_wbl2 sc0 sc1
	global_store_dwordx2 v[2:3], v[0:1], off sc0 sc1
	s_sendmsg sendmsg(MSG_INTERRUPT)
.LBB6_1409:
	s_or_b64 exec, exec, s[6:7]
	v_lshl_add_u64 v[0:1], v[6:7], 0, v[26:27]
	s_branch .LBB6_1413
.LBB6_1410:                             ;   in Loop: Header=BB6_1413 Depth=1
	s_or_b64 exec, exec, s[6:7]
	v_readfirstlane_b32 s6, v2
	s_cmp_eq_u32 s6, 0
	s_cbranch_scc1 .LBB6_1412
; %bb.1411:                             ;   in Loop: Header=BB6_1413 Depth=1
	s_sleep 1
	s_cbranch_execnz .LBB6_1413
	s_branch .LBB6_1415
.LBB6_1412:
	s_branch .LBB6_1415
.LBB6_1413:                             ; =>This Inner Loop Header: Depth=1
	v_mov_b32_e32 v2, 1
	s_and_saveexec_b64 s[6:7], s[0:1]
	s_cbranch_execz .LBB6_1410
; %bb.1414:                             ;   in Loop: Header=BB6_1413 Depth=1
	global_load_dword v2, v[4:5], off offset:20 sc0 sc1
	s_waitcnt vmcnt(0)
	buffer_inv sc0 sc1
	v_and_b32_e32 v2, 1, v2
	s_branch .LBB6_1410
.LBB6_1415:
	global_load_dwordx2 v[0:1], v[0:1], off
	s_and_saveexec_b64 s[6:7], s[0:1]
	s_cbranch_execz .LBB6_1418
; %bb.1416:
	v_mov_b32_e32 v8, 0
	global_load_dwordx2 v[2:3], v8, s[2:3] offset:40
	global_load_dwordx2 v[12:13], v8, s[2:3] offset:24 sc0 sc1
	global_load_dwordx2 v[4:5], v8, s[2:3]
	s_waitcnt vmcnt(2)
	v_readfirstlane_b32 s8, v2
	v_readfirstlane_b32 s9, v3
	s_add_u32 s10, s8, 1
	s_addc_u32 s11, s9, 0
	s_add_u32 s0, s10, s4
	s_addc_u32 s1, s11, s5
	s_cmp_eq_u64 s[0:1], 0
	s_cselect_b32 s1, s11, s1
	s_cselect_b32 s0, s10, s0
	s_and_b64 s[4:5], s[0:1], s[8:9]
	s_mul_i32 s5, s5, 24
	s_mul_hi_u32 s8, s4, 24
	s_mul_i32 s4, s4, 24
	s_add_i32 s5, s8, s5
	s_waitcnt vmcnt(0)
	v_lshl_add_u64 v[6:7], v[4:5], 0, s[4:5]
	v_mov_b32_e32 v10, s0
	global_store_dwordx2 v[6:7], v[12:13], off
	v_mov_b32_e32 v11, s1
	buffer_wbl2 sc0 sc1
	s_waitcnt vmcnt(0)
	global_atomic_cmpswap_x2 v[4:5], v8, v[10:13], s[2:3] offset:24 sc0 sc1
	s_mov_b64 s[4:5], 0
	s_waitcnt vmcnt(0)
	v_cmp_ne_u64_e32 vcc, v[4:5], v[12:13]
	s_and_b64 exec, exec, vcc
	s_cbranch_execz .LBB6_1418
.LBB6_1417:                             ; =>This Inner Loop Header: Depth=1
	s_sleep 1
	global_store_dwordx2 v[6:7], v[4:5], off
	v_mov_b32_e32 v2, s0
	v_mov_b32_e32 v3, s1
	buffer_wbl2 sc0 sc1
	s_waitcnt vmcnt(0)
	global_atomic_cmpswap_x2 v[2:3], v8, v[2:5], s[2:3] offset:24 sc0 sc1
	s_waitcnt vmcnt(0)
	v_cmp_eq_u64_e32 vcc, v[2:3], v[4:5]
	s_or_b64 s[4:5], vcc, s[4:5]
	v_mov_b64_e32 v[4:5], v[2:3]
	s_andn2_b64 exec, exec, s[4:5]
	s_cbranch_execnz .LBB6_1417
.LBB6_1418:
	s_or_b64 exec, exec, s[6:7]
	s_getpc_b64 s[4:5]
	s_add_u32 s4, s4, .str.28@rel32@lo+4
	s_addc_u32 s5, s5, .str.28@rel32@hi+12
	s_cmp_lg_u64 s[4:5], 0
	s_cbranch_scc0 .LBB6_1511
; %bb.1419:
	s_waitcnt vmcnt(0)
	v_and_b32_e32 v6, -3, v0
	v_mov_b32_e32 v7, v1
	s_mov_b64 s[6:7], 35
	v_mov_b32_e32 v29, 0
	v_mov_b32_e32 v4, 2
	;; [unrolled: 1-line block ×3, first 2 shown]
	s_branch .LBB6_1421
.LBB6_1420:                             ;   in Loop: Header=BB6_1421 Depth=1
	s_or_b64 exec, exec, s[12:13]
	s_sub_u32 s6, s6, s8
	s_subb_u32 s7, s7, s9
	s_add_u32 s4, s4, s8
	s_addc_u32 s5, s5, s9
	s_cmp_lg_u64 s[6:7], 0
	s_cbranch_scc0 .LBB6_1510
.LBB6_1421:                             ; =>This Loop Header: Depth=1
                                        ;     Child Loop BB6_1424 Depth 2
                                        ;     Child Loop BB6_1433 Depth 2
	;; [unrolled: 1-line block ×11, first 2 shown]
	v_cmp_lt_u64_e64 s[0:1], s[6:7], 56
	s_and_b64 s[0:1], s[0:1], exec
	s_cselect_b32 s9, s7, 0
	s_cselect_b32 s8, s6, 56
	v_cmp_gt_u64_e64 s[10:11], s[6:7], 7
	s_add_u32 s0, s4, 8
	s_addc_u32 s1, s5, 0
	s_and_b64 vcc, exec, s[10:11]
	s_cbranch_vccnz .LBB6_1425
; %bb.1422:                             ;   in Loop: Header=BB6_1421 Depth=1
	s_cmp_eq_u64 s[6:7], 0
	s_cbranch_scc1 .LBB6_1426
; %bb.1423:                             ;   in Loop: Header=BB6_1421 Depth=1
	s_lshl_b64 s[0:1], s[8:9], 3
	s_mov_b64 s[10:11], 0
	s_waitcnt vmcnt(0)
	v_mov_b64_e32 v[8:9], 0
	s_mov_b64 s[12:13], s[4:5]
.LBB6_1424:                             ;   Parent Loop BB6_1421 Depth=1
                                        ; =>  This Inner Loop Header: Depth=2
	global_load_ubyte v2, v29, s[12:13]
	s_waitcnt vmcnt(0)
	v_and_b32_e32 v28, 0xffff, v2
	v_lshlrev_b64 v[2:3], s10, v[28:29]
	s_add_u32 s10, s10, 8
	s_addc_u32 s11, s11, 0
	s_add_u32 s12, s12, 1
	s_addc_u32 s13, s13, 0
	v_or_b32_e32 v8, v2, v8
	s_cmp_lg_u32 s0, s10
	v_or_b32_e32 v9, v3, v9
	s_cbranch_scc1 .LBB6_1424
	s_branch .LBB6_1427
.LBB6_1425:                             ;   in Loop: Header=BB6_1421 Depth=1
	s_mov_b64 s[10:11], -1
	s_branch .LBB6_1428
.LBB6_1426:                             ;   in Loop: Header=BB6_1421 Depth=1
	s_waitcnt vmcnt(0)
	v_mov_b64_e32 v[8:9], 0
.LBB6_1427:                             ;   in Loop: Header=BB6_1421 Depth=1
	s_mov_b64 s[10:11], 0
	s_mov_b64 s[0:1], s[4:5]
.LBB6_1428:                             ;   in Loop: Header=BB6_1421 Depth=1
	s_andn2_b64 vcc, exec, s[10:11]
	s_mov_b32 s14, 0
	s_cbranch_vccnz .LBB6_1430
; %bb.1429:                             ;   in Loop: Header=BB6_1421 Depth=1
	global_load_dwordx2 v[8:9], v29, s[4:5]
	s_add_i32 s14, s8, -8
.LBB6_1430:                             ;   in Loop: Header=BB6_1421 Depth=1
	s_add_u32 s10, s0, 8
	s_addc_u32 s11, s1, 0
	s_cmp_gt_u32 s14, 7
	s_cbranch_scc1 .LBB6_1434
; %bb.1431:                             ;   in Loop: Header=BB6_1421 Depth=1
	s_cmp_eq_u32 s14, 0
	s_cbranch_scc1 .LBB6_1435
; %bb.1432:                             ;   in Loop: Header=BB6_1421 Depth=1
	s_mov_b64 s[10:11], 0
	v_mov_b64_e32 v[10:11], 0
	s_mov_b64 s[12:13], 0
.LBB6_1433:                             ;   Parent Loop BB6_1421 Depth=1
                                        ; =>  This Inner Loop Header: Depth=2
	s_add_u32 s16, s0, s12
	s_addc_u32 s17, s1, s13
	global_load_ubyte v2, v29, s[16:17]
	s_add_u32 s12, s12, 1
	s_addc_u32 s13, s13, 0
	s_waitcnt vmcnt(0)
	v_and_b32_e32 v28, 0xffff, v2
	v_lshlrev_b64 v[2:3], s10, v[28:29]
	s_add_u32 s10, s10, 8
	s_addc_u32 s11, s11, 0
	v_or_b32_e32 v10, v2, v10
	s_cmp_lg_u32 s14, s12
	v_or_b32_e32 v11, v3, v11
	s_cbranch_scc1 .LBB6_1433
	s_branch .LBB6_1436
.LBB6_1434:                             ;   in Loop: Header=BB6_1421 Depth=1
	s_mov_b64 s[12:13], -1
                                        ; implicit-def: $vgpr10_vgpr11
	s_branch .LBB6_1437
.LBB6_1435:                             ;   in Loop: Header=BB6_1421 Depth=1
	v_mov_b64_e32 v[10:11], 0
.LBB6_1436:                             ;   in Loop: Header=BB6_1421 Depth=1
	s_mov_b64 s[12:13], 0
	s_mov_b64 s[10:11], s[0:1]
.LBB6_1437:                             ;   in Loop: Header=BB6_1421 Depth=1
	s_andn2_b64 vcc, exec, s[12:13]
	s_mov_b32 s15, 0
	s_cbranch_vccnz .LBB6_1439
; %bb.1438:                             ;   in Loop: Header=BB6_1421 Depth=1
	global_load_dwordx2 v[10:11], v29, s[0:1]
	s_add_i32 s15, s14, -8
.LBB6_1439:                             ;   in Loop: Header=BB6_1421 Depth=1
	s_add_u32 s0, s10, 8
	s_addc_u32 s1, s11, 0
	s_cmp_gt_u32 s15, 7
	s_cbranch_scc1 .LBB6_1443
; %bb.1440:                             ;   in Loop: Header=BB6_1421 Depth=1
	s_cmp_eq_u32 s15, 0
	s_cbranch_scc1 .LBB6_1444
; %bb.1441:                             ;   in Loop: Header=BB6_1421 Depth=1
	s_mov_b64 s[0:1], 0
	v_mov_b64_e32 v[12:13], 0
	s_mov_b64 s[12:13], 0
.LBB6_1442:                             ;   Parent Loop BB6_1421 Depth=1
                                        ; =>  This Inner Loop Header: Depth=2
	s_add_u32 s16, s10, s12
	s_addc_u32 s17, s11, s13
	global_load_ubyte v2, v29, s[16:17]
	s_add_u32 s12, s12, 1
	s_addc_u32 s13, s13, 0
	s_waitcnt vmcnt(0)
	v_and_b32_e32 v28, 0xffff, v2
	v_lshlrev_b64 v[2:3], s0, v[28:29]
	s_add_u32 s0, s0, 8
	s_addc_u32 s1, s1, 0
	v_or_b32_e32 v12, v2, v12
	s_cmp_lg_u32 s15, s12
	v_or_b32_e32 v13, v3, v13
	s_cbranch_scc1 .LBB6_1442
	s_branch .LBB6_1445
.LBB6_1443:                             ;   in Loop: Header=BB6_1421 Depth=1
	s_mov_b64 s[12:13], -1
	s_branch .LBB6_1446
.LBB6_1444:                             ;   in Loop: Header=BB6_1421 Depth=1
	v_mov_b64_e32 v[12:13], 0
.LBB6_1445:                             ;   in Loop: Header=BB6_1421 Depth=1
	s_mov_b64 s[12:13], 0
	s_mov_b64 s[0:1], s[10:11]
.LBB6_1446:                             ;   in Loop: Header=BB6_1421 Depth=1
	s_andn2_b64 vcc, exec, s[12:13]
	s_mov_b32 s14, 0
	s_cbranch_vccnz .LBB6_1448
; %bb.1447:                             ;   in Loop: Header=BB6_1421 Depth=1
	global_load_dwordx2 v[12:13], v29, s[10:11]
	s_add_i32 s14, s15, -8
.LBB6_1448:                             ;   in Loop: Header=BB6_1421 Depth=1
	s_add_u32 s10, s0, 8
	s_addc_u32 s11, s1, 0
	s_cmp_gt_u32 s14, 7
	s_cbranch_scc1 .LBB6_1452
; %bb.1449:                             ;   in Loop: Header=BB6_1421 Depth=1
	s_cmp_eq_u32 s14, 0
	s_cbranch_scc1 .LBB6_1453
; %bb.1450:                             ;   in Loop: Header=BB6_1421 Depth=1
	s_mov_b64 s[10:11], 0
	v_mov_b64_e32 v[14:15], 0
	s_mov_b64 s[12:13], 0
.LBB6_1451:                             ;   Parent Loop BB6_1421 Depth=1
                                        ; =>  This Inner Loop Header: Depth=2
	s_add_u32 s16, s0, s12
	s_addc_u32 s17, s1, s13
	global_load_ubyte v2, v29, s[16:17]
	s_add_u32 s12, s12, 1
	s_addc_u32 s13, s13, 0
	s_waitcnt vmcnt(0)
	v_and_b32_e32 v28, 0xffff, v2
	v_lshlrev_b64 v[2:3], s10, v[28:29]
	s_add_u32 s10, s10, 8
	s_addc_u32 s11, s11, 0
	v_or_b32_e32 v14, v2, v14
	s_cmp_lg_u32 s14, s12
	v_or_b32_e32 v15, v3, v15
	s_cbranch_scc1 .LBB6_1451
	s_branch .LBB6_1454
.LBB6_1452:                             ;   in Loop: Header=BB6_1421 Depth=1
	s_mov_b64 s[12:13], -1
                                        ; implicit-def: $vgpr14_vgpr15
	s_branch .LBB6_1455
.LBB6_1453:                             ;   in Loop: Header=BB6_1421 Depth=1
	v_mov_b64_e32 v[14:15], 0
.LBB6_1454:                             ;   in Loop: Header=BB6_1421 Depth=1
	s_mov_b64 s[12:13], 0
	s_mov_b64 s[10:11], s[0:1]
.LBB6_1455:                             ;   in Loop: Header=BB6_1421 Depth=1
	s_andn2_b64 vcc, exec, s[12:13]
	s_mov_b32 s15, 0
	s_cbranch_vccnz .LBB6_1457
; %bb.1456:                             ;   in Loop: Header=BB6_1421 Depth=1
	global_load_dwordx2 v[14:15], v29, s[0:1]
	s_add_i32 s15, s14, -8
.LBB6_1457:                             ;   in Loop: Header=BB6_1421 Depth=1
	s_add_u32 s0, s10, 8
	s_addc_u32 s1, s11, 0
	s_cmp_gt_u32 s15, 7
	s_cbranch_scc1 .LBB6_1461
; %bb.1458:                             ;   in Loop: Header=BB6_1421 Depth=1
	s_cmp_eq_u32 s15, 0
	s_cbranch_scc1 .LBB6_1462
; %bb.1459:                             ;   in Loop: Header=BB6_1421 Depth=1
	s_mov_b64 s[0:1], 0
	v_mov_b64_e32 v[16:17], 0
	s_mov_b64 s[12:13], 0
.LBB6_1460:                             ;   Parent Loop BB6_1421 Depth=1
                                        ; =>  This Inner Loop Header: Depth=2
	s_add_u32 s16, s10, s12
	s_addc_u32 s17, s11, s13
	global_load_ubyte v2, v29, s[16:17]
	s_add_u32 s12, s12, 1
	s_addc_u32 s13, s13, 0
	s_waitcnt vmcnt(0)
	v_and_b32_e32 v28, 0xffff, v2
	v_lshlrev_b64 v[2:3], s0, v[28:29]
	s_add_u32 s0, s0, 8
	s_addc_u32 s1, s1, 0
	v_or_b32_e32 v16, v2, v16
	s_cmp_lg_u32 s15, s12
	v_or_b32_e32 v17, v3, v17
	s_cbranch_scc1 .LBB6_1460
	s_branch .LBB6_1463
.LBB6_1461:                             ;   in Loop: Header=BB6_1421 Depth=1
	s_mov_b64 s[12:13], -1
	s_branch .LBB6_1464
.LBB6_1462:                             ;   in Loop: Header=BB6_1421 Depth=1
	v_mov_b64_e32 v[16:17], 0
.LBB6_1463:                             ;   in Loop: Header=BB6_1421 Depth=1
	s_mov_b64 s[12:13], 0
	s_mov_b64 s[0:1], s[10:11]
.LBB6_1464:                             ;   in Loop: Header=BB6_1421 Depth=1
	s_andn2_b64 vcc, exec, s[12:13]
	s_mov_b32 s14, 0
	s_cbranch_vccnz .LBB6_1466
; %bb.1465:                             ;   in Loop: Header=BB6_1421 Depth=1
	global_load_dwordx2 v[16:17], v29, s[10:11]
	s_add_i32 s14, s15, -8
.LBB6_1466:                             ;   in Loop: Header=BB6_1421 Depth=1
	s_add_u32 s10, s0, 8
	s_addc_u32 s11, s1, 0
	s_cmp_gt_u32 s14, 7
	s_cbranch_scc1 .LBB6_1470
; %bb.1467:                             ;   in Loop: Header=BB6_1421 Depth=1
	s_cmp_eq_u32 s14, 0
	s_cbranch_scc1 .LBB6_1471
; %bb.1468:                             ;   in Loop: Header=BB6_1421 Depth=1
	s_mov_b64 s[10:11], 0
	v_mov_b64_e32 v[18:19], 0
	s_mov_b64 s[12:13], 0
.LBB6_1469:                             ;   Parent Loop BB6_1421 Depth=1
                                        ; =>  This Inner Loop Header: Depth=2
	s_add_u32 s16, s0, s12
	s_addc_u32 s17, s1, s13
	global_load_ubyte v2, v29, s[16:17]
	s_add_u32 s12, s12, 1
	s_addc_u32 s13, s13, 0
	s_waitcnt vmcnt(0)
	v_and_b32_e32 v28, 0xffff, v2
	v_lshlrev_b64 v[2:3], s10, v[28:29]
	s_add_u32 s10, s10, 8
	s_addc_u32 s11, s11, 0
	v_or_b32_e32 v18, v2, v18
	s_cmp_lg_u32 s14, s12
	v_or_b32_e32 v19, v3, v19
	s_cbranch_scc1 .LBB6_1469
	s_branch .LBB6_1472
.LBB6_1470:                             ;   in Loop: Header=BB6_1421 Depth=1
	s_mov_b64 s[12:13], -1
                                        ; implicit-def: $vgpr18_vgpr19
	s_branch .LBB6_1473
.LBB6_1471:                             ;   in Loop: Header=BB6_1421 Depth=1
	v_mov_b64_e32 v[18:19], 0
.LBB6_1472:                             ;   in Loop: Header=BB6_1421 Depth=1
	s_mov_b64 s[12:13], 0
	s_mov_b64 s[10:11], s[0:1]
.LBB6_1473:                             ;   in Loop: Header=BB6_1421 Depth=1
	s_andn2_b64 vcc, exec, s[12:13]
	s_mov_b32 s15, 0
	s_cbranch_vccnz .LBB6_1475
; %bb.1474:                             ;   in Loop: Header=BB6_1421 Depth=1
	global_load_dwordx2 v[18:19], v29, s[0:1]
	s_add_i32 s15, s14, -8
.LBB6_1475:                             ;   in Loop: Header=BB6_1421 Depth=1
	s_cmp_gt_u32 s15, 7
	s_cbranch_scc1 .LBB6_1479
; %bb.1476:                             ;   in Loop: Header=BB6_1421 Depth=1
	s_cmp_eq_u32 s15, 0
	s_cbranch_scc1 .LBB6_1480
; %bb.1477:                             ;   in Loop: Header=BB6_1421 Depth=1
	s_mov_b64 s[0:1], 0
	v_mov_b64_e32 v[20:21], 0
	s_mov_b64 s[12:13], s[10:11]
.LBB6_1478:                             ;   Parent Loop BB6_1421 Depth=1
                                        ; =>  This Inner Loop Header: Depth=2
	global_load_ubyte v2, v29, s[12:13]
	s_add_i32 s15, s15, -1
	s_waitcnt vmcnt(0)
	v_and_b32_e32 v28, 0xffff, v2
	v_lshlrev_b64 v[2:3], s0, v[28:29]
	s_add_u32 s0, s0, 8
	s_addc_u32 s1, s1, 0
	s_add_u32 s12, s12, 1
	s_addc_u32 s13, s13, 0
	v_or_b32_e32 v20, v2, v20
	s_cmp_lg_u32 s15, 0
	v_or_b32_e32 v21, v3, v21
	s_cbranch_scc1 .LBB6_1478
	s_branch .LBB6_1481
.LBB6_1479:                             ;   in Loop: Header=BB6_1421 Depth=1
	s_mov_b64 s[0:1], -1
	s_branch .LBB6_1482
.LBB6_1480:                             ;   in Loop: Header=BB6_1421 Depth=1
	v_mov_b64_e32 v[20:21], 0
.LBB6_1481:                             ;   in Loop: Header=BB6_1421 Depth=1
	s_mov_b64 s[0:1], 0
.LBB6_1482:                             ;   in Loop: Header=BB6_1421 Depth=1
	s_andn2_b64 vcc, exec, s[0:1]
	s_cbranch_vccnz .LBB6_1484
; %bb.1483:                             ;   in Loop: Header=BB6_1421 Depth=1
	global_load_dwordx2 v[20:21], v29, s[10:11]
.LBB6_1484:                             ;   in Loop: Header=BB6_1421 Depth=1
	v_readfirstlane_b32 s0, v32
	v_mov_b64_e32 v[2:3], 0
	s_nop 0
	v_cmp_eq_u32_e64 s[0:1], s0, v32
	s_and_saveexec_b64 s[10:11], s[0:1]
	s_cbranch_execz .LBB6_1490
; %bb.1485:                             ;   in Loop: Header=BB6_1421 Depth=1
	global_load_dwordx2 v[24:25], v29, s[2:3] offset:24 sc0 sc1
	s_waitcnt vmcnt(0)
	buffer_inv sc0 sc1
	global_load_dwordx2 v[2:3], v29, s[2:3] offset:40
	global_load_dwordx2 v[22:23], v29, s[2:3]
	s_waitcnt vmcnt(1)
	v_and_b32_e32 v2, v2, v24
	v_and_b32_e32 v3, v3, v25
	v_mul_lo_u32 v3, v3, 24
	v_mul_hi_u32 v27, v2, 24
	v_add_u32_e32 v3, v27, v3
	v_mul_lo_u32 v2, v2, 24
	s_waitcnt vmcnt(0)
	v_lshl_add_u64 v[2:3], v[22:23], 0, v[2:3]
	global_load_dwordx2 v[22:23], v[2:3], off sc0 sc1
	s_waitcnt vmcnt(0)
	global_atomic_cmpswap_x2 v[2:3], v29, v[22:25], s[2:3] offset:24 sc0 sc1
	s_waitcnt vmcnt(0)
	buffer_inv sc0 sc1
	v_cmp_ne_u64_e32 vcc, v[2:3], v[24:25]
	s_and_saveexec_b64 s[12:13], vcc
	s_cbranch_execz .LBB6_1489
; %bb.1486:                             ;   in Loop: Header=BB6_1421 Depth=1
	s_mov_b64 s[14:15], 0
.LBB6_1487:                             ;   Parent Loop BB6_1421 Depth=1
                                        ; =>  This Inner Loop Header: Depth=2
	s_sleep 1
	global_load_dwordx2 v[22:23], v29, s[2:3] offset:40
	global_load_dwordx2 v[30:31], v29, s[2:3]
	v_mov_b64_e32 v[24:25], v[2:3]
	s_waitcnt vmcnt(1)
	v_and_b32_e32 v2, v22, v24
	s_waitcnt vmcnt(0)
	v_mad_u64_u32 v[2:3], s[16:17], v2, 24, v[30:31]
	v_and_b32_e32 v23, v23, v25
	v_mov_b32_e32 v22, v3
	v_mad_u64_u32 v[22:23], s[16:17], v23, 24, v[22:23]
	v_mov_b32_e32 v3, v22
	global_load_dwordx2 v[22:23], v[2:3], off sc0 sc1
	s_waitcnt vmcnt(0)
	global_atomic_cmpswap_x2 v[2:3], v29, v[22:25], s[2:3] offset:24 sc0 sc1
	s_waitcnt vmcnt(0)
	buffer_inv sc0 sc1
	v_cmp_eq_u64_e32 vcc, v[2:3], v[24:25]
	s_or_b64 s[14:15], vcc, s[14:15]
	s_andn2_b64 exec, exec, s[14:15]
	s_cbranch_execnz .LBB6_1487
; %bb.1488:                             ;   in Loop: Header=BB6_1421 Depth=1
	s_or_b64 exec, exec, s[14:15]
.LBB6_1489:                             ;   in Loop: Header=BB6_1421 Depth=1
	s_or_b64 exec, exec, s[12:13]
.LBB6_1490:                             ;   in Loop: Header=BB6_1421 Depth=1
	s_or_b64 exec, exec, s[10:11]
	global_load_dwordx2 v[30:31], v29, s[2:3] offset:40
	global_load_dwordx4 v[22:25], v29, s[2:3]
	v_readfirstlane_b32 s11, v3
	v_readfirstlane_b32 s10, v2
	s_mov_b64 s[12:13], exec
	s_waitcnt vmcnt(1)
	v_readfirstlane_b32 s14, v30
	v_readfirstlane_b32 s15, v31
	s_and_b64 s[14:15], s[14:15], s[10:11]
	s_mul_i32 s16, s15, 24
	s_mul_hi_u32 s17, s14, 24
	s_add_i32 s17, s17, s16
	s_mul_i32 s16, s14, 24
	s_waitcnt vmcnt(0)
	v_lshl_add_u64 v[30:31], v[22:23], 0, s[16:17]
	s_and_saveexec_b64 s[16:17], s[0:1]
	s_cbranch_execz .LBB6_1492
; %bb.1491:                             ;   in Loop: Header=BB6_1421 Depth=1
	v_mov_b64_e32 v[2:3], s[12:13]
	global_store_dwordx4 v[30:31], v[2:5], off offset:8
.LBB6_1492:                             ;   in Loop: Header=BB6_1421 Depth=1
	s_or_b64 exec, exec, s[16:17]
	s_lshl_b64 s[12:13], s[14:15], 12
	v_lshl_add_u64 v[2:3], v[24:25], 0, s[12:13]
	v_cmp_gt_u64_e64 s[12:13], s[6:7], 56
	s_and_b64 s[12:13], s[12:13], exec
	s_cselect_b32 s12, 0, 2
	s_lshl_b32 s13, s8, 2
	s_add_i32 s13, s13, 28
	v_and_b32_e32 v6, 0xffffff1f, v6
	s_and_b32 s13, s13, 0x1e0
	v_or_b32_e32 v6, s12, v6
	v_or_b32_e32 v6, s13, v6
	v_readfirstlane_b32 s12, v2
	v_readfirstlane_b32 s13, v3
	s_nop 4
	global_store_dwordx4 v26, v[6:9], s[12:13]
	global_store_dwordx4 v26, v[10:13], s[12:13] offset:16
	global_store_dwordx4 v26, v[14:17], s[12:13] offset:32
	;; [unrolled: 1-line block ×3, first 2 shown]
	s_and_saveexec_b64 s[12:13], s[0:1]
	s_cbranch_execz .LBB6_1500
; %bb.1493:                             ;   in Loop: Header=BB6_1421 Depth=1
	global_load_dwordx2 v[14:15], v29, s[2:3] offset:32 sc0 sc1
	global_load_dwordx2 v[6:7], v29, s[2:3] offset:40
	v_mov_b32_e32 v12, s10
	v_mov_b32_e32 v13, s11
	s_waitcnt vmcnt(0)
	v_readfirstlane_b32 s14, v6
	v_readfirstlane_b32 s15, v7
	s_and_b64 s[14:15], s[14:15], s[10:11]
	s_mul_i32 s15, s15, 24
	s_mul_hi_u32 s16, s14, 24
	s_mul_i32 s14, s14, 24
	s_add_i32 s15, s16, s15
	v_lshl_add_u64 v[10:11], v[22:23], 0, s[14:15]
	global_store_dwordx2 v[10:11], v[14:15], off
	buffer_wbl2 sc0 sc1
	s_waitcnt vmcnt(0)
	global_atomic_cmpswap_x2 v[8:9], v29, v[12:15], s[2:3] offset:32 sc0 sc1
	s_waitcnt vmcnt(0)
	v_cmp_ne_u64_e32 vcc, v[8:9], v[14:15]
	s_and_saveexec_b64 s[14:15], vcc
	s_cbranch_execz .LBB6_1496
; %bb.1494:                             ;   in Loop: Header=BB6_1421 Depth=1
	s_mov_b64 s[16:17], 0
.LBB6_1495:                             ;   Parent Loop BB6_1421 Depth=1
                                        ; =>  This Inner Loop Header: Depth=2
	s_sleep 1
	global_store_dwordx2 v[10:11], v[8:9], off
	v_mov_b32_e32 v6, s10
	v_mov_b32_e32 v7, s11
	buffer_wbl2 sc0 sc1
	s_waitcnt vmcnt(0)
	global_atomic_cmpswap_x2 v[6:7], v29, v[6:9], s[2:3] offset:32 sc0 sc1
	s_waitcnt vmcnt(0)
	v_cmp_eq_u64_e32 vcc, v[6:7], v[8:9]
	s_or_b64 s[16:17], vcc, s[16:17]
	v_mov_b64_e32 v[8:9], v[6:7]
	s_andn2_b64 exec, exec, s[16:17]
	s_cbranch_execnz .LBB6_1495
.LBB6_1496:                             ;   in Loop: Header=BB6_1421 Depth=1
	s_or_b64 exec, exec, s[14:15]
	global_load_dwordx2 v[6:7], v29, s[2:3] offset:16
	s_mov_b64 s[16:17], exec
	v_mbcnt_lo_u32_b32 v8, s16, 0
	v_mbcnt_hi_u32_b32 v8, s17, v8
	v_cmp_eq_u32_e32 vcc, 0, v8
	s_and_saveexec_b64 s[14:15], vcc
	s_cbranch_execz .LBB6_1498
; %bb.1497:                             ;   in Loop: Header=BB6_1421 Depth=1
	s_bcnt1_i32_b64 s16, s[16:17]
	v_mov_b32_e32 v28, s16
	buffer_wbl2 sc0 sc1
	s_waitcnt vmcnt(0)
	global_atomic_add_x2 v[6:7], v[28:29], off offset:8 sc1
.LBB6_1498:                             ;   in Loop: Header=BB6_1421 Depth=1
	s_or_b64 exec, exec, s[14:15]
	s_waitcnt vmcnt(0)
	global_load_dwordx2 v[8:9], v[6:7], off offset:16
	s_waitcnt vmcnt(0)
	v_cmp_eq_u64_e32 vcc, 0, v[8:9]
	s_cbranch_vccnz .LBB6_1500
; %bb.1499:                             ;   in Loop: Header=BB6_1421 Depth=1
	global_load_dword v28, v[6:7], off offset:24
	s_waitcnt vmcnt(0)
	v_readfirstlane_b32 s14, v28
	s_and_b32 m0, s14, 0xffffff
	buffer_wbl2 sc0 sc1
	global_store_dwordx2 v[8:9], v[28:29], off sc0 sc1
	s_sendmsg sendmsg(MSG_INTERRUPT)
.LBB6_1500:                             ;   in Loop: Header=BB6_1421 Depth=1
	s_or_b64 exec, exec, s[12:13]
	v_mov_b32_e32 v27, v29
	v_lshl_add_u64 v[2:3], v[2:3], 0, v[26:27]
	s_branch .LBB6_1504
.LBB6_1501:                             ;   in Loop: Header=BB6_1504 Depth=2
	s_or_b64 exec, exec, s[12:13]
	v_readfirstlane_b32 s12, v6
	s_cmp_eq_u32 s12, 0
	s_cbranch_scc1 .LBB6_1503
; %bb.1502:                             ;   in Loop: Header=BB6_1504 Depth=2
	s_sleep 1
	s_cbranch_execnz .LBB6_1504
	s_branch .LBB6_1506
.LBB6_1503:                             ;   in Loop: Header=BB6_1421 Depth=1
	s_branch .LBB6_1506
.LBB6_1504:                             ;   Parent Loop BB6_1421 Depth=1
                                        ; =>  This Inner Loop Header: Depth=2
	v_mov_b32_e32 v6, 1
	s_and_saveexec_b64 s[12:13], s[0:1]
	s_cbranch_execz .LBB6_1501
; %bb.1505:                             ;   in Loop: Header=BB6_1504 Depth=2
	global_load_dword v6, v[30:31], off offset:20 sc0 sc1
	s_waitcnt vmcnt(0)
	buffer_inv sc0 sc1
	v_and_b32_e32 v6, 1, v6
	s_branch .LBB6_1501
.LBB6_1506:                             ;   in Loop: Header=BB6_1421 Depth=1
	global_load_dwordx4 v[6:9], v[2:3], off
	s_and_saveexec_b64 s[12:13], s[0:1]
	s_cbranch_execz .LBB6_1420
; %bb.1507:                             ;   in Loop: Header=BB6_1421 Depth=1
	global_load_dwordx2 v[2:3], v29, s[2:3] offset:40
	global_load_dwordx2 v[12:13], v29, s[2:3] offset:24 sc0 sc1
	global_load_dwordx2 v[8:9], v29, s[2:3]
	s_waitcnt vmcnt(2)
	v_readfirstlane_b32 s14, v2
	v_readfirstlane_b32 s15, v3
	s_add_u32 s16, s14, 1
	s_addc_u32 s17, s15, 0
	s_add_u32 s0, s16, s10
	s_addc_u32 s1, s17, s11
	s_cmp_eq_u64 s[0:1], 0
	s_cselect_b32 s1, s17, s1
	s_cselect_b32 s0, s16, s0
	s_and_b64 s[10:11], s[0:1], s[14:15]
	s_mul_i32 s11, s11, 24
	s_mul_hi_u32 s14, s10, 24
	s_mul_i32 s10, s10, 24
	s_add_i32 s11, s14, s11
	s_waitcnt vmcnt(0)
	v_lshl_add_u64 v[2:3], v[8:9], 0, s[10:11]
	v_mov_b32_e32 v10, s0
	global_store_dwordx2 v[2:3], v[12:13], off
	v_mov_b32_e32 v11, s1
	buffer_wbl2 sc0 sc1
	s_waitcnt vmcnt(0)
	global_atomic_cmpswap_x2 v[10:11], v29, v[10:13], s[2:3] offset:24 sc0 sc1
	s_waitcnt vmcnt(0)
	v_cmp_ne_u64_e32 vcc, v[10:11], v[12:13]
	s_and_b64 exec, exec, vcc
	s_cbranch_execz .LBB6_1420
; %bb.1508:                             ;   in Loop: Header=BB6_1421 Depth=1
	s_mov_b64 s[10:11], 0
.LBB6_1509:                             ;   Parent Loop BB6_1421 Depth=1
                                        ; =>  This Inner Loop Header: Depth=2
	s_sleep 1
	global_store_dwordx2 v[2:3], v[10:11], off
	v_mov_b32_e32 v8, s0
	v_mov_b32_e32 v9, s1
	buffer_wbl2 sc0 sc1
	s_waitcnt vmcnt(0)
	global_atomic_cmpswap_x2 v[8:9], v29, v[8:11], s[2:3] offset:24 sc0 sc1
	s_waitcnt vmcnt(0)
	v_cmp_eq_u64_e32 vcc, v[8:9], v[10:11]
	s_or_b64 s[10:11], vcc, s[10:11]
	v_mov_b64_e32 v[10:11], v[8:9]
	s_andn2_b64 exec, exec, s[10:11]
	s_cbranch_execnz .LBB6_1509
	s_branch .LBB6_1420
.LBB6_1510:
	s_mov_b64 s[0:1], 0
	s_branch .LBB6_1512
.LBB6_1511:
	s_mov_b64 s[0:1], -1
.LBB6_1512:
	s_and_b64 vcc, exec, s[0:1]
	s_cbranch_vccz .LBB6_1539
; %bb.1513:
	v_readfirstlane_b32 s0, v32
	s_waitcnt vmcnt(0)
	v_mov_b64_e32 v[8:9], 0
	v_cmp_eq_u32_e64 s[0:1], s0, v32
	s_and_saveexec_b64 s[4:5], s[0:1]
	s_cbranch_execz .LBB6_1519
; %bb.1514:
	v_mov_b32_e32 v2, 0
	global_load_dwordx2 v[6:7], v2, s[2:3] offset:24 sc0 sc1
	s_waitcnt vmcnt(0)
	buffer_inv sc0 sc1
	global_load_dwordx2 v[4:5], v2, s[2:3] offset:40
	global_load_dwordx2 v[8:9], v2, s[2:3]
	s_waitcnt vmcnt(1)
	v_and_b32_e32 v3, v4, v6
	v_and_b32_e32 v4, v5, v7
	v_mul_lo_u32 v4, v4, 24
	v_mul_hi_u32 v5, v3, 24
	v_add_u32_e32 v5, v5, v4
	v_mul_lo_u32 v4, v3, 24
	s_waitcnt vmcnt(0)
	v_lshl_add_u64 v[4:5], v[8:9], 0, v[4:5]
	global_load_dwordx2 v[4:5], v[4:5], off sc0 sc1
	s_waitcnt vmcnt(0)
	global_atomic_cmpswap_x2 v[8:9], v2, v[4:7], s[2:3] offset:24 sc0 sc1
	s_waitcnt vmcnt(0)
	buffer_inv sc0 sc1
	v_cmp_ne_u64_e32 vcc, v[8:9], v[6:7]
	s_and_saveexec_b64 s[6:7], vcc
	s_cbranch_execz .LBB6_1518
; %bb.1515:
	s_mov_b64 s[8:9], 0
.LBB6_1516:                             ; =>This Inner Loop Header: Depth=1
	s_sleep 1
	global_load_dwordx2 v[4:5], v2, s[2:3] offset:40
	global_load_dwordx2 v[10:11], v2, s[2:3]
	v_mov_b64_e32 v[6:7], v[8:9]
	s_waitcnt vmcnt(1)
	v_and_b32_e32 v4, v4, v6
	v_and_b32_e32 v3, v5, v7
	s_waitcnt vmcnt(0)
	v_mad_u64_u32 v[4:5], s[10:11], v4, 24, v[10:11]
	v_mov_b32_e32 v8, v5
	v_mad_u64_u32 v[8:9], s[10:11], v3, 24, v[8:9]
	v_mov_b32_e32 v5, v8
	global_load_dwordx2 v[4:5], v[4:5], off sc0 sc1
	s_waitcnt vmcnt(0)
	global_atomic_cmpswap_x2 v[8:9], v2, v[4:7], s[2:3] offset:24 sc0 sc1
	s_waitcnt vmcnt(0)
	buffer_inv sc0 sc1
	v_cmp_eq_u64_e32 vcc, v[8:9], v[6:7]
	s_or_b64 s[8:9], vcc, s[8:9]
	s_andn2_b64 exec, exec, s[8:9]
	s_cbranch_execnz .LBB6_1516
; %bb.1517:
	s_or_b64 exec, exec, s[8:9]
.LBB6_1518:
	s_or_b64 exec, exec, s[6:7]
.LBB6_1519:
	s_or_b64 exec, exec, s[4:5]
	v_mov_b32_e32 v2, 0
	global_load_dwordx2 v[10:11], v2, s[2:3] offset:40
	global_load_dwordx4 v[4:7], v2, s[2:3]
	v_readfirstlane_b32 s5, v9
	v_readfirstlane_b32 s4, v8
	s_mov_b64 s[6:7], exec
	s_waitcnt vmcnt(1)
	v_readfirstlane_b32 s8, v10
	v_readfirstlane_b32 s9, v11
	s_and_b64 s[8:9], s[8:9], s[4:5]
	s_mul_i32 s10, s9, 24
	s_mul_hi_u32 s11, s8, 24
	s_add_i32 s11, s11, s10
	s_mul_i32 s10, s8, 24
	s_waitcnt vmcnt(0)
	v_lshl_add_u64 v[8:9], v[4:5], 0, s[10:11]
	s_and_saveexec_b64 s[10:11], s[0:1]
	s_cbranch_execz .LBB6_1521
; %bb.1520:
	v_mov_b64_e32 v[10:11], s[6:7]
	v_mov_b32_e32 v12, 2
	v_mov_b32_e32 v13, 1
	global_store_dwordx4 v[8:9], v[10:13], off offset:8
.LBB6_1521:
	s_or_b64 exec, exec, s[10:11]
	s_lshl_b64 s[6:7], s[8:9], 12
	v_lshl_add_u64 v[6:7], v[6:7], 0, s[6:7]
	s_movk_i32 s6, 0xff1d
	s_mov_b32 s8, 0
	v_and_or_b32 v0, v0, s6, 34
	v_mov_b32_e32 v3, v2
	v_readfirstlane_b32 s6, v6
	v_readfirstlane_b32 s7, v7
	s_mov_b32 s9, s8
	s_mov_b32 s10, s8
	s_mov_b32 s11, s8
	s_nop 1
	global_store_dwordx4 v26, v[0:3], s[6:7]
	s_nop 1
	v_mov_b64_e32 v[0:1], s[8:9]
	v_mov_b64_e32 v[2:3], s[10:11]
	global_store_dwordx4 v26, v[0:3], s[6:7] offset:16
	global_store_dwordx4 v26, v[0:3], s[6:7] offset:32
	;; [unrolled: 1-line block ×3, first 2 shown]
	s_and_saveexec_b64 s[6:7], s[0:1]
	s_cbranch_execz .LBB6_1529
; %bb.1522:
	v_mov_b32_e32 v6, 0
	global_load_dwordx2 v[12:13], v6, s[2:3] offset:32 sc0 sc1
	global_load_dwordx2 v[0:1], v6, s[2:3] offset:40
	v_mov_b32_e32 v10, s4
	v_mov_b32_e32 v11, s5
	s_waitcnt vmcnt(0)
	v_readfirstlane_b32 s8, v0
	v_readfirstlane_b32 s9, v1
	s_and_b64 s[8:9], s[8:9], s[4:5]
	s_mul_i32 s9, s9, 24
	s_mul_hi_u32 s10, s8, 24
	s_mul_i32 s8, s8, 24
	s_add_i32 s9, s10, s9
	v_lshl_add_u64 v[4:5], v[4:5], 0, s[8:9]
	global_store_dwordx2 v[4:5], v[12:13], off
	buffer_wbl2 sc0 sc1
	s_waitcnt vmcnt(0)
	global_atomic_cmpswap_x2 v[2:3], v6, v[10:13], s[2:3] offset:32 sc0 sc1
	s_waitcnt vmcnt(0)
	v_cmp_ne_u64_e32 vcc, v[2:3], v[12:13]
	s_and_saveexec_b64 s[8:9], vcc
	s_cbranch_execz .LBB6_1525
; %bb.1523:
	s_mov_b64 s[10:11], 0
.LBB6_1524:                             ; =>This Inner Loop Header: Depth=1
	s_sleep 1
	global_store_dwordx2 v[4:5], v[2:3], off
	v_mov_b32_e32 v0, s4
	v_mov_b32_e32 v1, s5
	buffer_wbl2 sc0 sc1
	s_waitcnt vmcnt(0)
	global_atomic_cmpswap_x2 v[0:1], v6, v[0:3], s[2:3] offset:32 sc0 sc1
	s_waitcnt vmcnt(0)
	v_cmp_eq_u64_e32 vcc, v[0:1], v[2:3]
	s_or_b64 s[10:11], vcc, s[10:11]
	v_mov_b64_e32 v[2:3], v[0:1]
	s_andn2_b64 exec, exec, s[10:11]
	s_cbranch_execnz .LBB6_1524
.LBB6_1525:
	s_or_b64 exec, exec, s[8:9]
	v_mov_b32_e32 v3, 0
	global_load_dwordx2 v[0:1], v3, s[2:3] offset:16
	s_mov_b64 s[8:9], exec
	v_mbcnt_lo_u32_b32 v2, s8, 0
	v_mbcnt_hi_u32_b32 v2, s9, v2
	v_cmp_eq_u32_e32 vcc, 0, v2
	s_and_saveexec_b64 s[10:11], vcc
	s_cbranch_execz .LBB6_1527
; %bb.1526:
	s_bcnt1_i32_b64 s8, s[8:9]
	v_mov_b32_e32 v2, s8
	buffer_wbl2 sc0 sc1
	s_waitcnt vmcnt(0)
	global_atomic_add_x2 v[0:1], v[2:3], off offset:8 sc1
.LBB6_1527:
	s_or_b64 exec, exec, s[10:11]
	s_waitcnt vmcnt(0)
	global_load_dwordx2 v[2:3], v[0:1], off offset:16
	s_waitcnt vmcnt(0)
	v_cmp_eq_u64_e32 vcc, 0, v[2:3]
	s_cbranch_vccnz .LBB6_1529
; %bb.1528:
	global_load_dword v0, v[0:1], off offset:24
	v_mov_b32_e32 v1, 0
	s_waitcnt vmcnt(0)
	v_readfirstlane_b32 s8, v0
	s_and_b32 m0, s8, 0xffffff
	buffer_wbl2 sc0 sc1
	global_store_dwordx2 v[2:3], v[0:1], off sc0 sc1
	s_sendmsg sendmsg(MSG_INTERRUPT)
.LBB6_1529:
	s_or_b64 exec, exec, s[6:7]
	s_branch .LBB6_1533
.LBB6_1530:                             ;   in Loop: Header=BB6_1533 Depth=1
	s_or_b64 exec, exec, s[6:7]
	v_readfirstlane_b32 s6, v0
	s_cmp_eq_u32 s6, 0
	s_cbranch_scc1 .LBB6_1532
; %bb.1531:                             ;   in Loop: Header=BB6_1533 Depth=1
	s_sleep 1
	s_cbranch_execnz .LBB6_1533
	s_branch .LBB6_1535
.LBB6_1532:
	s_branch .LBB6_1535
.LBB6_1533:                             ; =>This Inner Loop Header: Depth=1
	v_mov_b32_e32 v0, 1
	s_and_saveexec_b64 s[6:7], s[0:1]
	s_cbranch_execz .LBB6_1530
; %bb.1534:                             ;   in Loop: Header=BB6_1533 Depth=1
	global_load_dword v0, v[8:9], off offset:20 sc0 sc1
	s_waitcnt vmcnt(0)
	buffer_inv sc0 sc1
	v_and_b32_e32 v0, 1, v0
	s_branch .LBB6_1530
.LBB6_1535:
	s_and_saveexec_b64 s[6:7], s[0:1]
	s_cbranch_execz .LBB6_1538
; %bb.1536:
	v_mov_b32_e32 v6, 0
	global_load_dwordx2 v[0:1], v6, s[2:3] offset:40
	global_load_dwordx2 v[10:11], v6, s[2:3] offset:24 sc0 sc1
	global_load_dwordx2 v[2:3], v6, s[2:3]
	s_waitcnt vmcnt(2)
	v_readfirstlane_b32 s8, v0
	v_readfirstlane_b32 s9, v1
	s_add_u32 s10, s8, 1
	s_addc_u32 s11, s9, 0
	s_add_u32 s0, s10, s4
	s_addc_u32 s1, s11, s5
	s_cmp_eq_u64 s[0:1], 0
	s_cselect_b32 s1, s11, s1
	s_cselect_b32 s0, s10, s0
	s_and_b64 s[4:5], s[0:1], s[8:9]
	s_mul_i32 s5, s5, 24
	s_mul_hi_u32 s8, s4, 24
	s_mul_i32 s4, s4, 24
	s_add_i32 s5, s8, s5
	s_waitcnt vmcnt(0)
	v_lshl_add_u64 v[4:5], v[2:3], 0, s[4:5]
	v_mov_b32_e32 v8, s0
	global_store_dwordx2 v[4:5], v[10:11], off
	v_mov_b32_e32 v9, s1
	buffer_wbl2 sc0 sc1
	s_waitcnt vmcnt(0)
	global_atomic_cmpswap_x2 v[2:3], v6, v[8:11], s[2:3] offset:24 sc0 sc1
	s_mov_b64 s[4:5], 0
	s_waitcnt vmcnt(0)
	v_cmp_ne_u64_e32 vcc, v[2:3], v[10:11]
	s_and_b64 exec, exec, vcc
	s_cbranch_execz .LBB6_1538
.LBB6_1537:                             ; =>This Inner Loop Header: Depth=1
	s_sleep 1
	global_store_dwordx2 v[4:5], v[2:3], off
	v_mov_b32_e32 v0, s0
	v_mov_b32_e32 v1, s1
	buffer_wbl2 sc0 sc1
	s_waitcnt vmcnt(0)
	global_atomic_cmpswap_x2 v[0:1], v6, v[0:3], s[2:3] offset:24 sc0 sc1
	s_waitcnt vmcnt(0)
	v_cmp_eq_u64_e32 vcc, v[0:1], v[2:3]
	s_or_b64 s[4:5], vcc, s[4:5]
	v_mov_b64_e32 v[2:3], v[0:1]
	s_andn2_b64 exec, exec, s[4:5]
	s_cbranch_execnz .LBB6_1537
.LBB6_1538:
	s_or_b64 exec, exec, s[6:7]
.LBB6_1539:
	s_getpc_b64 s[0:1]
	s_add_u32 s0, s0, .str.29@rel32@lo+4
	s_addc_u32 s1, s1, .str.29@rel32@hi+12
	s_getpc_b64 s[2:3]
	s_add_u32 s2, s2, .str.19@rel32@lo+4
	s_addc_u32 s3, s3, .str.19@rel32@hi+12
	s_getpc_b64 s[4:5]
	s_add_u32 s4, s4, __PRETTY_FUNCTION__._ZN7VecsMemIjLi8192EE5fetchEi@rel32@lo+4
	s_addc_u32 s5, s5, __PRETTY_FUNCTION__._ZN7VecsMemIjLi8192EE5fetchEi@rel32@hi+12
	s_getpc_b64 s[6:7]
	s_add_u32 s6, s6, __assert_fail@rel32@lo+4
	s_addc_u32 s7, s7, __assert_fail@rel32@hi+12
	s_mov_b64 s[8:9], s[64:65]
	s_waitcnt vmcnt(0)
	v_mov_b32_e32 v0, s0
	v_mov_b32_e32 v1, s1
	;; [unrolled: 1-line block ×7, first 2 shown]
	s_swappc_b64 s[30:31], s[6:7]
	s_or_b64 s[24:25], s[24:25], exec
.LBB6_1540:
	s_or_b64 exec, exec, s[26:27]
	v_readlane_b32 s0, v47, 6
	v_readlane_b32 s1, v47, 7
	s_andn2_b64 s[0:1], s[0:1], exec
	s_and_b64 s[2:3], s[24:25], exec
	s_or_b64 s[24:25], s[0:1], s[2:3]
	v_readlane_b32 s0, v47, 42
	s_and_b64 s[22:23], s[22:23], exec
	v_readlane_b32 s1, v47, 43
.LBB6_1541:
	s_andn2_saveexec_b64 s[26:27], s[0:1]
	s_cbranch_execz .LBB6_1689
; %bb.1542:
	s_load_dwordx2 s[2:3], s[64:65], 0x50
	v_mbcnt_lo_u32_b32 v0, -1, 0
	v_mbcnt_hi_u32_b32 v32, -1, v0
	v_mov_b64_e32 v[4:5], 0
	v_readfirstlane_b32 s0, v32
	s_nop 1
	v_cmp_eq_u32_e64 s[0:1], s0, v32
	s_and_saveexec_b64 s[4:5], s[0:1]
	s_cbranch_execz .LBB6_1548
; %bb.1543:
	v_mov_b32_e32 v0, 0
	s_waitcnt lgkmcnt(0)
	global_load_dwordx2 v[6:7], v0, s[2:3] offset:24 sc0 sc1
	s_waitcnt vmcnt(0)
	buffer_inv sc0 sc1
	global_load_dwordx2 v[2:3], v0, s[2:3] offset:40
	global_load_dwordx2 v[4:5], v0, s[2:3]
	s_waitcnt vmcnt(1)
	v_and_b32_e32 v1, v2, v6
	v_and_b32_e32 v2, v3, v7
	v_mul_lo_u32 v2, v2, 24
	v_mul_hi_u32 v3, v1, 24
	v_add_u32_e32 v3, v3, v2
	v_mul_lo_u32 v2, v1, 24
	s_waitcnt vmcnt(0)
	v_lshl_add_u64 v[2:3], v[4:5], 0, v[2:3]
	global_load_dwordx2 v[4:5], v[2:3], off sc0 sc1
	s_waitcnt vmcnt(0)
	global_atomic_cmpswap_x2 v[4:5], v0, v[4:7], s[2:3] offset:24 sc0 sc1
	s_waitcnt vmcnt(0)
	buffer_inv sc0 sc1
	v_cmp_ne_u64_e32 vcc, v[4:5], v[6:7]
	s_and_saveexec_b64 s[6:7], vcc
	s_cbranch_execz .LBB6_1547
; %bb.1544:
	s_mov_b64 s[8:9], 0
.LBB6_1545:                             ; =>This Inner Loop Header: Depth=1
	s_sleep 1
	global_load_dwordx2 v[2:3], v0, s[2:3] offset:40
	global_load_dwordx2 v[8:9], v0, s[2:3]
	v_mov_b64_e32 v[6:7], v[4:5]
	s_waitcnt vmcnt(1)
	v_and_b32_e32 v2, v2, v6
	v_and_b32_e32 v1, v3, v7
	s_waitcnt vmcnt(0)
	v_mad_u64_u32 v[2:3], s[10:11], v2, 24, v[8:9]
	v_mov_b32_e32 v4, v3
	v_mad_u64_u32 v[4:5], s[10:11], v1, 24, v[4:5]
	v_mov_b32_e32 v3, v4
	global_load_dwordx2 v[4:5], v[2:3], off sc0 sc1
	s_waitcnt vmcnt(0)
	global_atomic_cmpswap_x2 v[4:5], v0, v[4:7], s[2:3] offset:24 sc0 sc1
	s_waitcnt vmcnt(0)
	buffer_inv sc0 sc1
	v_cmp_eq_u64_e32 vcc, v[4:5], v[6:7]
	s_or_b64 s[8:9], vcc, s[8:9]
	s_andn2_b64 exec, exec, s[8:9]
	s_cbranch_execnz .LBB6_1545
; %bb.1546:
	s_or_b64 exec, exec, s[8:9]
.LBB6_1547:
	s_or_b64 exec, exec, s[6:7]
.LBB6_1548:
	s_or_b64 exec, exec, s[4:5]
	v_mov_b32_e32 v27, 0
	s_waitcnt lgkmcnt(0)
	global_load_dwordx2 v[6:7], v27, s[2:3] offset:40
	global_load_dwordx4 v[0:3], v27, s[2:3]
	v_readfirstlane_b32 s5, v5
	v_readfirstlane_b32 s4, v4
	s_mov_b64 s[6:7], exec
	s_waitcnt vmcnt(0)
	v_readfirstlane_b32 s8, v6
	v_readfirstlane_b32 s9, v7
	s_and_b64 s[8:9], s[8:9], s[4:5]
	s_mul_i32 s10, s9, 24
	s_mul_hi_u32 s11, s8, 24
	s_add_i32 s11, s11, s10
	s_mul_i32 s10, s8, 24
	v_lshl_add_u64 v[4:5], v[0:1], 0, s[10:11]
	s_and_saveexec_b64 s[10:11], s[0:1]
	s_cbranch_execz .LBB6_1550
; %bb.1549:
	v_mov_b64_e32 v[6:7], s[6:7]
	v_mov_b32_e32 v8, 2
	v_mov_b32_e32 v9, 1
	global_store_dwordx4 v[4:5], v[6:9], off offset:8
.LBB6_1550:
	s_or_b64 exec, exec, s[10:11]
	s_lshl_b64 s[6:7], s[8:9], 12
	v_lshl_add_u64 v[6:7], v[2:3], 0, s[6:7]
	s_mov_b32 s8, 0
	v_lshlrev_b32_e32 v26, 6, v32
	v_mov_b32_e32 v8, 33
	v_mov_b32_e32 v9, v27
	;; [unrolled: 1-line block ×4, first 2 shown]
	v_readfirstlane_b32 s6, v6
	v_readfirstlane_b32 s7, v7
	s_mov_b32 s9, s8
	s_mov_b32 s10, s8
	;; [unrolled: 1-line block ×3, first 2 shown]
	s_nop 1
	global_store_dwordx4 v26, v[8:11], s[6:7]
	s_nop 1
	v_mov_b64_e32 v[8:9], s[8:9]
	v_mov_b64_e32 v[10:11], s[10:11]
	global_store_dwordx4 v26, v[8:11], s[6:7] offset:16
	global_store_dwordx4 v26, v[8:11], s[6:7] offset:32
	;; [unrolled: 1-line block ×3, first 2 shown]
	s_and_saveexec_b64 s[6:7], s[0:1]
	s_cbranch_execz .LBB6_1558
; %bb.1551:
	v_mov_b32_e32 v10, 0
	global_load_dwordx2 v[14:15], v10, s[2:3] offset:32 sc0 sc1
	global_load_dwordx2 v[2:3], v10, s[2:3] offset:40
	v_mov_b32_e32 v12, s4
	v_mov_b32_e32 v13, s5
	s_waitcnt vmcnt(0)
	v_and_b32_e32 v2, s4, v2
	v_and_b32_e32 v3, s5, v3
	v_mul_lo_u32 v3, v3, 24
	v_mul_hi_u32 v8, v2, 24
	v_mul_lo_u32 v2, v2, 24
	v_add_u32_e32 v3, v8, v3
	v_lshl_add_u64 v[8:9], v[0:1], 0, v[2:3]
	global_store_dwordx2 v[8:9], v[14:15], off
	buffer_wbl2 sc0 sc1
	s_waitcnt vmcnt(0)
	global_atomic_cmpswap_x2 v[2:3], v10, v[12:15], s[2:3] offset:32 sc0 sc1
	s_waitcnt vmcnt(0)
	v_cmp_ne_u64_e32 vcc, v[2:3], v[14:15]
	s_and_saveexec_b64 s[8:9], vcc
	s_cbranch_execz .LBB6_1554
; %bb.1552:
	s_mov_b64 s[10:11], 0
.LBB6_1553:                             ; =>This Inner Loop Header: Depth=1
	s_sleep 1
	global_store_dwordx2 v[8:9], v[2:3], off
	v_mov_b32_e32 v0, s4
	v_mov_b32_e32 v1, s5
	buffer_wbl2 sc0 sc1
	s_waitcnt vmcnt(0)
	global_atomic_cmpswap_x2 v[0:1], v10, v[0:3], s[2:3] offset:32 sc0 sc1
	s_waitcnt vmcnt(0)
	v_cmp_eq_u64_e32 vcc, v[0:1], v[2:3]
	s_or_b64 s[10:11], vcc, s[10:11]
	v_mov_b64_e32 v[2:3], v[0:1]
	s_andn2_b64 exec, exec, s[10:11]
	s_cbranch_execnz .LBB6_1553
.LBB6_1554:
	s_or_b64 exec, exec, s[8:9]
	v_mov_b32_e32 v3, 0
	global_load_dwordx2 v[0:1], v3, s[2:3] offset:16
	s_mov_b64 s[8:9], exec
	v_mbcnt_lo_u32_b32 v2, s8, 0
	v_mbcnt_hi_u32_b32 v2, s9, v2
	v_cmp_eq_u32_e32 vcc, 0, v2
	s_and_saveexec_b64 s[10:11], vcc
	s_cbranch_execz .LBB6_1556
; %bb.1555:
	s_bcnt1_i32_b64 s8, s[8:9]
	v_mov_b32_e32 v2, s8
	buffer_wbl2 sc0 sc1
	s_waitcnt vmcnt(0)
	global_atomic_add_x2 v[0:1], v[2:3], off offset:8 sc1
.LBB6_1556:
	s_or_b64 exec, exec, s[10:11]
	s_waitcnt vmcnt(0)
	global_load_dwordx2 v[2:3], v[0:1], off offset:16
	s_waitcnt vmcnt(0)
	v_cmp_eq_u64_e32 vcc, 0, v[2:3]
	s_cbranch_vccnz .LBB6_1558
; %bb.1557:
	global_load_dword v0, v[0:1], off offset:24
	v_mov_b32_e32 v1, 0
	s_waitcnt vmcnt(0)
	v_readfirstlane_b32 s8, v0
	s_and_b32 m0, s8, 0xffffff
	buffer_wbl2 sc0 sc1
	global_store_dwordx2 v[2:3], v[0:1], off sc0 sc1
	s_sendmsg sendmsg(MSG_INTERRUPT)
.LBB6_1558:
	s_or_b64 exec, exec, s[6:7]
	v_lshl_add_u64 v[0:1], v[6:7], 0, v[26:27]
	s_branch .LBB6_1562
.LBB6_1559:                             ;   in Loop: Header=BB6_1562 Depth=1
	s_or_b64 exec, exec, s[6:7]
	v_readfirstlane_b32 s6, v2
	s_cmp_eq_u32 s6, 0
	s_cbranch_scc1 .LBB6_1561
; %bb.1560:                             ;   in Loop: Header=BB6_1562 Depth=1
	s_sleep 1
	s_cbranch_execnz .LBB6_1562
	s_branch .LBB6_1564
.LBB6_1561:
	s_branch .LBB6_1564
.LBB6_1562:                             ; =>This Inner Loop Header: Depth=1
	v_mov_b32_e32 v2, 1
	s_and_saveexec_b64 s[6:7], s[0:1]
	s_cbranch_execz .LBB6_1559
; %bb.1563:                             ;   in Loop: Header=BB6_1562 Depth=1
	global_load_dword v2, v[4:5], off offset:20 sc0 sc1
	s_waitcnt vmcnt(0)
	buffer_inv sc0 sc1
	v_and_b32_e32 v2, 1, v2
	s_branch .LBB6_1559
.LBB6_1564:
	global_load_dwordx2 v[0:1], v[0:1], off
	s_and_saveexec_b64 s[6:7], s[0:1]
	s_cbranch_execz .LBB6_1567
; %bb.1565:
	v_mov_b32_e32 v8, 0
	global_load_dwordx2 v[2:3], v8, s[2:3] offset:40
	global_load_dwordx2 v[12:13], v8, s[2:3] offset:24 sc0 sc1
	global_load_dwordx2 v[4:5], v8, s[2:3]
	s_waitcnt vmcnt(2)
	v_readfirstlane_b32 s8, v2
	v_readfirstlane_b32 s9, v3
	s_add_u32 s10, s8, 1
	s_addc_u32 s11, s9, 0
	s_add_u32 s0, s10, s4
	s_addc_u32 s1, s11, s5
	s_cmp_eq_u64 s[0:1], 0
	s_cselect_b32 s1, s11, s1
	s_cselect_b32 s0, s10, s0
	s_and_b64 s[4:5], s[0:1], s[8:9]
	s_mul_i32 s5, s5, 24
	s_mul_hi_u32 s8, s4, 24
	s_mul_i32 s4, s4, 24
	s_add_i32 s5, s8, s5
	s_waitcnt vmcnt(0)
	v_lshl_add_u64 v[6:7], v[4:5], 0, s[4:5]
	v_mov_b32_e32 v10, s0
	global_store_dwordx2 v[6:7], v[12:13], off
	v_mov_b32_e32 v11, s1
	buffer_wbl2 sc0 sc1
	s_waitcnt vmcnt(0)
	global_atomic_cmpswap_x2 v[4:5], v8, v[10:13], s[2:3] offset:24 sc0 sc1
	s_mov_b64 s[4:5], 0
	s_waitcnt vmcnt(0)
	v_cmp_ne_u64_e32 vcc, v[4:5], v[12:13]
	s_and_b64 exec, exec, vcc
	s_cbranch_execz .LBB6_1567
.LBB6_1566:                             ; =>This Inner Loop Header: Depth=1
	s_sleep 1
	global_store_dwordx2 v[6:7], v[4:5], off
	v_mov_b32_e32 v2, s0
	v_mov_b32_e32 v3, s1
	buffer_wbl2 sc0 sc1
	s_waitcnt vmcnt(0)
	global_atomic_cmpswap_x2 v[2:3], v8, v[2:5], s[2:3] offset:24 sc0 sc1
	s_waitcnt vmcnt(0)
	v_cmp_eq_u64_e32 vcc, v[2:3], v[4:5]
	s_or_b64 s[4:5], vcc, s[4:5]
	v_mov_b64_e32 v[4:5], v[2:3]
	s_andn2_b64 exec, exec, s[4:5]
	s_cbranch_execnz .LBB6_1566
.LBB6_1567:
	s_or_b64 exec, exec, s[6:7]
	s_getpc_b64 s[4:5]
	s_add_u32 s4, s4, .str.28@rel32@lo+4
	s_addc_u32 s5, s5, .str.28@rel32@hi+12
	s_cmp_lg_u64 s[4:5], 0
	s_cbranch_scc0 .LBB6_1660
; %bb.1568:
	s_waitcnt vmcnt(0)
	v_and_b32_e32 v6, -3, v0
	v_mov_b32_e32 v7, v1
	s_mov_b64 s[6:7], 35
	v_mov_b32_e32 v29, 0
	v_mov_b32_e32 v4, 2
	;; [unrolled: 1-line block ×3, first 2 shown]
	s_branch .LBB6_1570
.LBB6_1569:                             ;   in Loop: Header=BB6_1570 Depth=1
	s_or_b64 exec, exec, s[12:13]
	s_sub_u32 s6, s6, s8
	s_subb_u32 s7, s7, s9
	s_add_u32 s4, s4, s8
	s_addc_u32 s5, s5, s9
	s_cmp_lg_u64 s[6:7], 0
	s_cbranch_scc0 .LBB6_1659
.LBB6_1570:                             ; =>This Loop Header: Depth=1
                                        ;     Child Loop BB6_1573 Depth 2
                                        ;     Child Loop BB6_1582 Depth 2
	;; [unrolled: 1-line block ×11, first 2 shown]
	v_cmp_lt_u64_e64 s[0:1], s[6:7], 56
	s_and_b64 s[0:1], s[0:1], exec
	s_cselect_b32 s9, s7, 0
	s_cselect_b32 s8, s6, 56
	v_cmp_gt_u64_e64 s[10:11], s[6:7], 7
	s_add_u32 s0, s4, 8
	s_addc_u32 s1, s5, 0
	s_and_b64 vcc, exec, s[10:11]
	s_cbranch_vccnz .LBB6_1574
; %bb.1571:                             ;   in Loop: Header=BB6_1570 Depth=1
	s_cmp_eq_u64 s[6:7], 0
	s_cbranch_scc1 .LBB6_1575
; %bb.1572:                             ;   in Loop: Header=BB6_1570 Depth=1
	s_lshl_b64 s[0:1], s[8:9], 3
	s_mov_b64 s[10:11], 0
	s_waitcnt vmcnt(0)
	v_mov_b64_e32 v[8:9], 0
	s_mov_b64 s[12:13], s[4:5]
.LBB6_1573:                             ;   Parent Loop BB6_1570 Depth=1
                                        ; =>  This Inner Loop Header: Depth=2
	global_load_ubyte v2, v29, s[12:13]
	s_waitcnt vmcnt(0)
	v_and_b32_e32 v28, 0xffff, v2
	v_lshlrev_b64 v[2:3], s10, v[28:29]
	s_add_u32 s10, s10, 8
	s_addc_u32 s11, s11, 0
	s_add_u32 s12, s12, 1
	s_addc_u32 s13, s13, 0
	v_or_b32_e32 v8, v2, v8
	s_cmp_lg_u32 s0, s10
	v_or_b32_e32 v9, v3, v9
	s_cbranch_scc1 .LBB6_1573
	s_branch .LBB6_1576
.LBB6_1574:                             ;   in Loop: Header=BB6_1570 Depth=1
	s_mov_b64 s[10:11], -1
	s_branch .LBB6_1577
.LBB6_1575:                             ;   in Loop: Header=BB6_1570 Depth=1
	s_waitcnt vmcnt(0)
	v_mov_b64_e32 v[8:9], 0
.LBB6_1576:                             ;   in Loop: Header=BB6_1570 Depth=1
	s_mov_b64 s[10:11], 0
	s_mov_b64 s[0:1], s[4:5]
.LBB6_1577:                             ;   in Loop: Header=BB6_1570 Depth=1
	s_andn2_b64 vcc, exec, s[10:11]
	s_mov_b32 s14, 0
	s_cbranch_vccnz .LBB6_1579
; %bb.1578:                             ;   in Loop: Header=BB6_1570 Depth=1
	global_load_dwordx2 v[8:9], v29, s[4:5]
	s_add_i32 s14, s8, -8
.LBB6_1579:                             ;   in Loop: Header=BB6_1570 Depth=1
	s_add_u32 s10, s0, 8
	s_addc_u32 s11, s1, 0
	s_cmp_gt_u32 s14, 7
	s_cbranch_scc1 .LBB6_1583
; %bb.1580:                             ;   in Loop: Header=BB6_1570 Depth=1
	s_cmp_eq_u32 s14, 0
	s_cbranch_scc1 .LBB6_1584
; %bb.1581:                             ;   in Loop: Header=BB6_1570 Depth=1
	s_mov_b64 s[10:11], 0
	v_mov_b64_e32 v[10:11], 0
	s_mov_b64 s[12:13], 0
.LBB6_1582:                             ;   Parent Loop BB6_1570 Depth=1
                                        ; =>  This Inner Loop Header: Depth=2
	s_add_u32 s16, s0, s12
	s_addc_u32 s17, s1, s13
	global_load_ubyte v2, v29, s[16:17]
	s_add_u32 s12, s12, 1
	s_addc_u32 s13, s13, 0
	s_waitcnt vmcnt(0)
	v_and_b32_e32 v28, 0xffff, v2
	v_lshlrev_b64 v[2:3], s10, v[28:29]
	s_add_u32 s10, s10, 8
	s_addc_u32 s11, s11, 0
	v_or_b32_e32 v10, v2, v10
	s_cmp_lg_u32 s14, s12
	v_or_b32_e32 v11, v3, v11
	s_cbranch_scc1 .LBB6_1582
	s_branch .LBB6_1585
.LBB6_1583:                             ;   in Loop: Header=BB6_1570 Depth=1
	s_mov_b64 s[12:13], -1
                                        ; implicit-def: $vgpr10_vgpr11
	s_branch .LBB6_1586
.LBB6_1584:                             ;   in Loop: Header=BB6_1570 Depth=1
	v_mov_b64_e32 v[10:11], 0
.LBB6_1585:                             ;   in Loop: Header=BB6_1570 Depth=1
	s_mov_b64 s[12:13], 0
	s_mov_b64 s[10:11], s[0:1]
.LBB6_1586:                             ;   in Loop: Header=BB6_1570 Depth=1
	s_andn2_b64 vcc, exec, s[12:13]
	s_mov_b32 s15, 0
	s_cbranch_vccnz .LBB6_1588
; %bb.1587:                             ;   in Loop: Header=BB6_1570 Depth=1
	global_load_dwordx2 v[10:11], v29, s[0:1]
	s_add_i32 s15, s14, -8
.LBB6_1588:                             ;   in Loop: Header=BB6_1570 Depth=1
	s_add_u32 s0, s10, 8
	s_addc_u32 s1, s11, 0
	s_cmp_gt_u32 s15, 7
	s_cbranch_scc1 .LBB6_1592
; %bb.1589:                             ;   in Loop: Header=BB6_1570 Depth=1
	s_cmp_eq_u32 s15, 0
	s_cbranch_scc1 .LBB6_1593
; %bb.1590:                             ;   in Loop: Header=BB6_1570 Depth=1
	s_mov_b64 s[0:1], 0
	v_mov_b64_e32 v[12:13], 0
	s_mov_b64 s[12:13], 0
.LBB6_1591:                             ;   Parent Loop BB6_1570 Depth=1
                                        ; =>  This Inner Loop Header: Depth=2
	s_add_u32 s16, s10, s12
	s_addc_u32 s17, s11, s13
	global_load_ubyte v2, v29, s[16:17]
	s_add_u32 s12, s12, 1
	s_addc_u32 s13, s13, 0
	s_waitcnt vmcnt(0)
	v_and_b32_e32 v28, 0xffff, v2
	v_lshlrev_b64 v[2:3], s0, v[28:29]
	s_add_u32 s0, s0, 8
	s_addc_u32 s1, s1, 0
	v_or_b32_e32 v12, v2, v12
	s_cmp_lg_u32 s15, s12
	v_or_b32_e32 v13, v3, v13
	s_cbranch_scc1 .LBB6_1591
	s_branch .LBB6_1594
.LBB6_1592:                             ;   in Loop: Header=BB6_1570 Depth=1
	s_mov_b64 s[12:13], -1
	s_branch .LBB6_1595
.LBB6_1593:                             ;   in Loop: Header=BB6_1570 Depth=1
	v_mov_b64_e32 v[12:13], 0
.LBB6_1594:                             ;   in Loop: Header=BB6_1570 Depth=1
	s_mov_b64 s[12:13], 0
	s_mov_b64 s[0:1], s[10:11]
.LBB6_1595:                             ;   in Loop: Header=BB6_1570 Depth=1
	s_andn2_b64 vcc, exec, s[12:13]
	s_mov_b32 s14, 0
	s_cbranch_vccnz .LBB6_1597
; %bb.1596:                             ;   in Loop: Header=BB6_1570 Depth=1
	global_load_dwordx2 v[12:13], v29, s[10:11]
	s_add_i32 s14, s15, -8
.LBB6_1597:                             ;   in Loop: Header=BB6_1570 Depth=1
	s_add_u32 s10, s0, 8
	s_addc_u32 s11, s1, 0
	s_cmp_gt_u32 s14, 7
	s_cbranch_scc1 .LBB6_1601
; %bb.1598:                             ;   in Loop: Header=BB6_1570 Depth=1
	s_cmp_eq_u32 s14, 0
	s_cbranch_scc1 .LBB6_1602
; %bb.1599:                             ;   in Loop: Header=BB6_1570 Depth=1
	s_mov_b64 s[10:11], 0
	v_mov_b64_e32 v[14:15], 0
	s_mov_b64 s[12:13], 0
.LBB6_1600:                             ;   Parent Loop BB6_1570 Depth=1
                                        ; =>  This Inner Loop Header: Depth=2
	s_add_u32 s16, s0, s12
	s_addc_u32 s17, s1, s13
	global_load_ubyte v2, v29, s[16:17]
	s_add_u32 s12, s12, 1
	s_addc_u32 s13, s13, 0
	s_waitcnt vmcnt(0)
	v_and_b32_e32 v28, 0xffff, v2
	v_lshlrev_b64 v[2:3], s10, v[28:29]
	s_add_u32 s10, s10, 8
	s_addc_u32 s11, s11, 0
	v_or_b32_e32 v14, v2, v14
	s_cmp_lg_u32 s14, s12
	v_or_b32_e32 v15, v3, v15
	s_cbranch_scc1 .LBB6_1600
	s_branch .LBB6_1603
.LBB6_1601:                             ;   in Loop: Header=BB6_1570 Depth=1
	s_mov_b64 s[12:13], -1
                                        ; implicit-def: $vgpr14_vgpr15
	s_branch .LBB6_1604
.LBB6_1602:                             ;   in Loop: Header=BB6_1570 Depth=1
	v_mov_b64_e32 v[14:15], 0
.LBB6_1603:                             ;   in Loop: Header=BB6_1570 Depth=1
	s_mov_b64 s[12:13], 0
	s_mov_b64 s[10:11], s[0:1]
.LBB6_1604:                             ;   in Loop: Header=BB6_1570 Depth=1
	s_andn2_b64 vcc, exec, s[12:13]
	s_mov_b32 s15, 0
	s_cbranch_vccnz .LBB6_1606
; %bb.1605:                             ;   in Loop: Header=BB6_1570 Depth=1
	global_load_dwordx2 v[14:15], v29, s[0:1]
	s_add_i32 s15, s14, -8
.LBB6_1606:                             ;   in Loop: Header=BB6_1570 Depth=1
	s_add_u32 s0, s10, 8
	s_addc_u32 s1, s11, 0
	s_cmp_gt_u32 s15, 7
	s_cbranch_scc1 .LBB6_1610
; %bb.1607:                             ;   in Loop: Header=BB6_1570 Depth=1
	s_cmp_eq_u32 s15, 0
	s_cbranch_scc1 .LBB6_1611
; %bb.1608:                             ;   in Loop: Header=BB6_1570 Depth=1
	s_mov_b64 s[0:1], 0
	v_mov_b64_e32 v[16:17], 0
	s_mov_b64 s[12:13], 0
.LBB6_1609:                             ;   Parent Loop BB6_1570 Depth=1
                                        ; =>  This Inner Loop Header: Depth=2
	s_add_u32 s16, s10, s12
	s_addc_u32 s17, s11, s13
	global_load_ubyte v2, v29, s[16:17]
	s_add_u32 s12, s12, 1
	s_addc_u32 s13, s13, 0
	s_waitcnt vmcnt(0)
	v_and_b32_e32 v28, 0xffff, v2
	v_lshlrev_b64 v[2:3], s0, v[28:29]
	s_add_u32 s0, s0, 8
	s_addc_u32 s1, s1, 0
	v_or_b32_e32 v16, v2, v16
	s_cmp_lg_u32 s15, s12
	v_or_b32_e32 v17, v3, v17
	s_cbranch_scc1 .LBB6_1609
	s_branch .LBB6_1612
.LBB6_1610:                             ;   in Loop: Header=BB6_1570 Depth=1
	s_mov_b64 s[12:13], -1
	s_branch .LBB6_1613
.LBB6_1611:                             ;   in Loop: Header=BB6_1570 Depth=1
	v_mov_b64_e32 v[16:17], 0
.LBB6_1612:                             ;   in Loop: Header=BB6_1570 Depth=1
	s_mov_b64 s[12:13], 0
	s_mov_b64 s[0:1], s[10:11]
.LBB6_1613:                             ;   in Loop: Header=BB6_1570 Depth=1
	s_andn2_b64 vcc, exec, s[12:13]
	s_mov_b32 s14, 0
	s_cbranch_vccnz .LBB6_1615
; %bb.1614:                             ;   in Loop: Header=BB6_1570 Depth=1
	global_load_dwordx2 v[16:17], v29, s[10:11]
	s_add_i32 s14, s15, -8
.LBB6_1615:                             ;   in Loop: Header=BB6_1570 Depth=1
	s_add_u32 s10, s0, 8
	s_addc_u32 s11, s1, 0
	s_cmp_gt_u32 s14, 7
	s_cbranch_scc1 .LBB6_1619
; %bb.1616:                             ;   in Loop: Header=BB6_1570 Depth=1
	s_cmp_eq_u32 s14, 0
	s_cbranch_scc1 .LBB6_1620
; %bb.1617:                             ;   in Loop: Header=BB6_1570 Depth=1
	s_mov_b64 s[10:11], 0
	v_mov_b64_e32 v[18:19], 0
	s_mov_b64 s[12:13], 0
.LBB6_1618:                             ;   Parent Loop BB6_1570 Depth=1
                                        ; =>  This Inner Loop Header: Depth=2
	s_add_u32 s16, s0, s12
	s_addc_u32 s17, s1, s13
	global_load_ubyte v2, v29, s[16:17]
	s_add_u32 s12, s12, 1
	s_addc_u32 s13, s13, 0
	s_waitcnt vmcnt(0)
	v_and_b32_e32 v28, 0xffff, v2
	v_lshlrev_b64 v[2:3], s10, v[28:29]
	s_add_u32 s10, s10, 8
	s_addc_u32 s11, s11, 0
	v_or_b32_e32 v18, v2, v18
	s_cmp_lg_u32 s14, s12
	v_or_b32_e32 v19, v3, v19
	s_cbranch_scc1 .LBB6_1618
	s_branch .LBB6_1621
.LBB6_1619:                             ;   in Loop: Header=BB6_1570 Depth=1
	s_mov_b64 s[12:13], -1
                                        ; implicit-def: $vgpr18_vgpr19
	s_branch .LBB6_1622
.LBB6_1620:                             ;   in Loop: Header=BB6_1570 Depth=1
	v_mov_b64_e32 v[18:19], 0
.LBB6_1621:                             ;   in Loop: Header=BB6_1570 Depth=1
	s_mov_b64 s[12:13], 0
	s_mov_b64 s[10:11], s[0:1]
.LBB6_1622:                             ;   in Loop: Header=BB6_1570 Depth=1
	s_andn2_b64 vcc, exec, s[12:13]
	s_mov_b32 s15, 0
	s_cbranch_vccnz .LBB6_1624
; %bb.1623:                             ;   in Loop: Header=BB6_1570 Depth=1
	global_load_dwordx2 v[18:19], v29, s[0:1]
	s_add_i32 s15, s14, -8
.LBB6_1624:                             ;   in Loop: Header=BB6_1570 Depth=1
	s_cmp_gt_u32 s15, 7
	s_cbranch_scc1 .LBB6_1628
; %bb.1625:                             ;   in Loop: Header=BB6_1570 Depth=1
	s_cmp_eq_u32 s15, 0
	s_cbranch_scc1 .LBB6_1629
; %bb.1626:                             ;   in Loop: Header=BB6_1570 Depth=1
	s_mov_b64 s[0:1], 0
	v_mov_b64_e32 v[20:21], 0
	s_mov_b64 s[12:13], s[10:11]
.LBB6_1627:                             ;   Parent Loop BB6_1570 Depth=1
                                        ; =>  This Inner Loop Header: Depth=2
	global_load_ubyte v2, v29, s[12:13]
	s_add_i32 s15, s15, -1
	s_waitcnt vmcnt(0)
	v_and_b32_e32 v28, 0xffff, v2
	v_lshlrev_b64 v[2:3], s0, v[28:29]
	s_add_u32 s0, s0, 8
	s_addc_u32 s1, s1, 0
	s_add_u32 s12, s12, 1
	s_addc_u32 s13, s13, 0
	v_or_b32_e32 v20, v2, v20
	s_cmp_lg_u32 s15, 0
	v_or_b32_e32 v21, v3, v21
	s_cbranch_scc1 .LBB6_1627
	s_branch .LBB6_1630
.LBB6_1628:                             ;   in Loop: Header=BB6_1570 Depth=1
	s_mov_b64 s[0:1], -1
	s_branch .LBB6_1631
.LBB6_1629:                             ;   in Loop: Header=BB6_1570 Depth=1
	v_mov_b64_e32 v[20:21], 0
.LBB6_1630:                             ;   in Loop: Header=BB6_1570 Depth=1
	s_mov_b64 s[0:1], 0
.LBB6_1631:                             ;   in Loop: Header=BB6_1570 Depth=1
	s_andn2_b64 vcc, exec, s[0:1]
	s_cbranch_vccnz .LBB6_1633
; %bb.1632:                             ;   in Loop: Header=BB6_1570 Depth=1
	global_load_dwordx2 v[20:21], v29, s[10:11]
.LBB6_1633:                             ;   in Loop: Header=BB6_1570 Depth=1
	v_readfirstlane_b32 s0, v32
	v_mov_b64_e32 v[2:3], 0
	s_nop 0
	v_cmp_eq_u32_e64 s[0:1], s0, v32
	s_and_saveexec_b64 s[10:11], s[0:1]
	s_cbranch_execz .LBB6_1639
; %bb.1634:                             ;   in Loop: Header=BB6_1570 Depth=1
	global_load_dwordx2 v[24:25], v29, s[2:3] offset:24 sc0 sc1
	s_waitcnt vmcnt(0)
	buffer_inv sc0 sc1
	global_load_dwordx2 v[2:3], v29, s[2:3] offset:40
	global_load_dwordx2 v[22:23], v29, s[2:3]
	s_waitcnt vmcnt(1)
	v_and_b32_e32 v2, v2, v24
	v_and_b32_e32 v3, v3, v25
	v_mul_lo_u32 v3, v3, 24
	v_mul_hi_u32 v27, v2, 24
	v_add_u32_e32 v3, v27, v3
	v_mul_lo_u32 v2, v2, 24
	s_waitcnt vmcnt(0)
	v_lshl_add_u64 v[2:3], v[22:23], 0, v[2:3]
	global_load_dwordx2 v[22:23], v[2:3], off sc0 sc1
	s_waitcnt vmcnt(0)
	global_atomic_cmpswap_x2 v[2:3], v29, v[22:25], s[2:3] offset:24 sc0 sc1
	s_waitcnt vmcnt(0)
	buffer_inv sc0 sc1
	v_cmp_ne_u64_e32 vcc, v[2:3], v[24:25]
	s_and_saveexec_b64 s[12:13], vcc
	s_cbranch_execz .LBB6_1638
; %bb.1635:                             ;   in Loop: Header=BB6_1570 Depth=1
	s_mov_b64 s[14:15], 0
.LBB6_1636:                             ;   Parent Loop BB6_1570 Depth=1
                                        ; =>  This Inner Loop Header: Depth=2
	s_sleep 1
	global_load_dwordx2 v[22:23], v29, s[2:3] offset:40
	global_load_dwordx2 v[30:31], v29, s[2:3]
	v_mov_b64_e32 v[24:25], v[2:3]
	s_waitcnt vmcnt(1)
	v_and_b32_e32 v2, v22, v24
	s_waitcnt vmcnt(0)
	v_mad_u64_u32 v[2:3], s[16:17], v2, 24, v[30:31]
	v_and_b32_e32 v23, v23, v25
	v_mov_b32_e32 v22, v3
	v_mad_u64_u32 v[22:23], s[16:17], v23, 24, v[22:23]
	v_mov_b32_e32 v3, v22
	global_load_dwordx2 v[22:23], v[2:3], off sc0 sc1
	s_waitcnt vmcnt(0)
	global_atomic_cmpswap_x2 v[2:3], v29, v[22:25], s[2:3] offset:24 sc0 sc1
	s_waitcnt vmcnt(0)
	buffer_inv sc0 sc1
	v_cmp_eq_u64_e32 vcc, v[2:3], v[24:25]
	s_or_b64 s[14:15], vcc, s[14:15]
	s_andn2_b64 exec, exec, s[14:15]
	s_cbranch_execnz .LBB6_1636
; %bb.1637:                             ;   in Loop: Header=BB6_1570 Depth=1
	s_or_b64 exec, exec, s[14:15]
.LBB6_1638:                             ;   in Loop: Header=BB6_1570 Depth=1
	s_or_b64 exec, exec, s[12:13]
.LBB6_1639:                             ;   in Loop: Header=BB6_1570 Depth=1
	s_or_b64 exec, exec, s[10:11]
	global_load_dwordx2 v[30:31], v29, s[2:3] offset:40
	global_load_dwordx4 v[22:25], v29, s[2:3]
	v_readfirstlane_b32 s11, v3
	v_readfirstlane_b32 s10, v2
	s_mov_b64 s[12:13], exec
	s_waitcnt vmcnt(1)
	v_readfirstlane_b32 s14, v30
	v_readfirstlane_b32 s15, v31
	s_and_b64 s[14:15], s[14:15], s[10:11]
	s_mul_i32 s16, s15, 24
	s_mul_hi_u32 s17, s14, 24
	s_add_i32 s17, s17, s16
	s_mul_i32 s16, s14, 24
	s_waitcnt vmcnt(0)
	v_lshl_add_u64 v[30:31], v[22:23], 0, s[16:17]
	s_and_saveexec_b64 s[16:17], s[0:1]
	s_cbranch_execz .LBB6_1641
; %bb.1640:                             ;   in Loop: Header=BB6_1570 Depth=1
	v_mov_b64_e32 v[2:3], s[12:13]
	global_store_dwordx4 v[30:31], v[2:5], off offset:8
.LBB6_1641:                             ;   in Loop: Header=BB6_1570 Depth=1
	s_or_b64 exec, exec, s[16:17]
	s_lshl_b64 s[12:13], s[14:15], 12
	v_lshl_add_u64 v[2:3], v[24:25], 0, s[12:13]
	v_cmp_gt_u64_e64 s[12:13], s[6:7], 56
	s_and_b64 s[12:13], s[12:13], exec
	s_cselect_b32 s12, 0, 2
	s_lshl_b32 s13, s8, 2
	s_add_i32 s13, s13, 28
	v_and_b32_e32 v6, 0xffffff1f, v6
	s_and_b32 s13, s13, 0x1e0
	v_or_b32_e32 v6, s12, v6
	v_or_b32_e32 v6, s13, v6
	v_readfirstlane_b32 s12, v2
	v_readfirstlane_b32 s13, v3
	s_nop 4
	global_store_dwordx4 v26, v[6:9], s[12:13]
	global_store_dwordx4 v26, v[10:13], s[12:13] offset:16
	global_store_dwordx4 v26, v[14:17], s[12:13] offset:32
	;; [unrolled: 1-line block ×3, first 2 shown]
	s_and_saveexec_b64 s[12:13], s[0:1]
	s_cbranch_execz .LBB6_1649
; %bb.1642:                             ;   in Loop: Header=BB6_1570 Depth=1
	global_load_dwordx2 v[14:15], v29, s[2:3] offset:32 sc0 sc1
	global_load_dwordx2 v[6:7], v29, s[2:3] offset:40
	v_mov_b32_e32 v12, s10
	v_mov_b32_e32 v13, s11
	s_waitcnt vmcnt(0)
	v_readfirstlane_b32 s14, v6
	v_readfirstlane_b32 s15, v7
	s_and_b64 s[14:15], s[14:15], s[10:11]
	s_mul_i32 s15, s15, 24
	s_mul_hi_u32 s16, s14, 24
	s_mul_i32 s14, s14, 24
	s_add_i32 s15, s16, s15
	v_lshl_add_u64 v[10:11], v[22:23], 0, s[14:15]
	global_store_dwordx2 v[10:11], v[14:15], off
	buffer_wbl2 sc0 sc1
	s_waitcnt vmcnt(0)
	global_atomic_cmpswap_x2 v[8:9], v29, v[12:15], s[2:3] offset:32 sc0 sc1
	s_waitcnt vmcnt(0)
	v_cmp_ne_u64_e32 vcc, v[8:9], v[14:15]
	s_and_saveexec_b64 s[14:15], vcc
	s_cbranch_execz .LBB6_1645
; %bb.1643:                             ;   in Loop: Header=BB6_1570 Depth=1
	s_mov_b64 s[16:17], 0
.LBB6_1644:                             ;   Parent Loop BB6_1570 Depth=1
                                        ; =>  This Inner Loop Header: Depth=2
	s_sleep 1
	global_store_dwordx2 v[10:11], v[8:9], off
	v_mov_b32_e32 v6, s10
	v_mov_b32_e32 v7, s11
	buffer_wbl2 sc0 sc1
	s_waitcnt vmcnt(0)
	global_atomic_cmpswap_x2 v[6:7], v29, v[6:9], s[2:3] offset:32 sc0 sc1
	s_waitcnt vmcnt(0)
	v_cmp_eq_u64_e32 vcc, v[6:7], v[8:9]
	s_or_b64 s[16:17], vcc, s[16:17]
	v_mov_b64_e32 v[8:9], v[6:7]
	s_andn2_b64 exec, exec, s[16:17]
	s_cbranch_execnz .LBB6_1644
.LBB6_1645:                             ;   in Loop: Header=BB6_1570 Depth=1
	s_or_b64 exec, exec, s[14:15]
	global_load_dwordx2 v[6:7], v29, s[2:3] offset:16
	s_mov_b64 s[16:17], exec
	v_mbcnt_lo_u32_b32 v8, s16, 0
	v_mbcnt_hi_u32_b32 v8, s17, v8
	v_cmp_eq_u32_e32 vcc, 0, v8
	s_and_saveexec_b64 s[14:15], vcc
	s_cbranch_execz .LBB6_1647
; %bb.1646:                             ;   in Loop: Header=BB6_1570 Depth=1
	s_bcnt1_i32_b64 s16, s[16:17]
	v_mov_b32_e32 v28, s16
	buffer_wbl2 sc0 sc1
	s_waitcnt vmcnt(0)
	global_atomic_add_x2 v[6:7], v[28:29], off offset:8 sc1
.LBB6_1647:                             ;   in Loop: Header=BB6_1570 Depth=1
	s_or_b64 exec, exec, s[14:15]
	s_waitcnt vmcnt(0)
	global_load_dwordx2 v[8:9], v[6:7], off offset:16
	s_waitcnt vmcnt(0)
	v_cmp_eq_u64_e32 vcc, 0, v[8:9]
	s_cbranch_vccnz .LBB6_1649
; %bb.1648:                             ;   in Loop: Header=BB6_1570 Depth=1
	global_load_dword v28, v[6:7], off offset:24
	s_waitcnt vmcnt(0)
	v_readfirstlane_b32 s14, v28
	s_and_b32 m0, s14, 0xffffff
	buffer_wbl2 sc0 sc1
	global_store_dwordx2 v[8:9], v[28:29], off sc0 sc1
	s_sendmsg sendmsg(MSG_INTERRUPT)
.LBB6_1649:                             ;   in Loop: Header=BB6_1570 Depth=1
	s_or_b64 exec, exec, s[12:13]
	v_mov_b32_e32 v27, v29
	v_lshl_add_u64 v[2:3], v[2:3], 0, v[26:27]
	s_branch .LBB6_1653
.LBB6_1650:                             ;   in Loop: Header=BB6_1653 Depth=2
	s_or_b64 exec, exec, s[12:13]
	v_readfirstlane_b32 s12, v6
	s_cmp_eq_u32 s12, 0
	s_cbranch_scc1 .LBB6_1652
; %bb.1651:                             ;   in Loop: Header=BB6_1653 Depth=2
	s_sleep 1
	s_cbranch_execnz .LBB6_1653
	s_branch .LBB6_1655
.LBB6_1652:                             ;   in Loop: Header=BB6_1570 Depth=1
	s_branch .LBB6_1655
.LBB6_1653:                             ;   Parent Loop BB6_1570 Depth=1
                                        ; =>  This Inner Loop Header: Depth=2
	v_mov_b32_e32 v6, 1
	s_and_saveexec_b64 s[12:13], s[0:1]
	s_cbranch_execz .LBB6_1650
; %bb.1654:                             ;   in Loop: Header=BB6_1653 Depth=2
	global_load_dword v6, v[30:31], off offset:20 sc0 sc1
	s_waitcnt vmcnt(0)
	buffer_inv sc0 sc1
	v_and_b32_e32 v6, 1, v6
	s_branch .LBB6_1650
.LBB6_1655:                             ;   in Loop: Header=BB6_1570 Depth=1
	global_load_dwordx4 v[6:9], v[2:3], off
	s_and_saveexec_b64 s[12:13], s[0:1]
	s_cbranch_execz .LBB6_1569
; %bb.1656:                             ;   in Loop: Header=BB6_1570 Depth=1
	global_load_dwordx2 v[2:3], v29, s[2:3] offset:40
	global_load_dwordx2 v[12:13], v29, s[2:3] offset:24 sc0 sc1
	global_load_dwordx2 v[8:9], v29, s[2:3]
	s_waitcnt vmcnt(2)
	v_readfirstlane_b32 s14, v2
	v_readfirstlane_b32 s15, v3
	s_add_u32 s16, s14, 1
	s_addc_u32 s17, s15, 0
	s_add_u32 s0, s16, s10
	s_addc_u32 s1, s17, s11
	s_cmp_eq_u64 s[0:1], 0
	s_cselect_b32 s1, s17, s1
	s_cselect_b32 s0, s16, s0
	s_and_b64 s[10:11], s[0:1], s[14:15]
	s_mul_i32 s11, s11, 24
	s_mul_hi_u32 s14, s10, 24
	s_mul_i32 s10, s10, 24
	s_add_i32 s11, s14, s11
	s_waitcnt vmcnt(0)
	v_lshl_add_u64 v[2:3], v[8:9], 0, s[10:11]
	v_mov_b32_e32 v10, s0
	global_store_dwordx2 v[2:3], v[12:13], off
	v_mov_b32_e32 v11, s1
	buffer_wbl2 sc0 sc1
	s_waitcnt vmcnt(0)
	global_atomic_cmpswap_x2 v[10:11], v29, v[10:13], s[2:3] offset:24 sc0 sc1
	s_waitcnt vmcnt(0)
	v_cmp_ne_u64_e32 vcc, v[10:11], v[12:13]
	s_and_b64 exec, exec, vcc
	s_cbranch_execz .LBB6_1569
; %bb.1657:                             ;   in Loop: Header=BB6_1570 Depth=1
	s_mov_b64 s[10:11], 0
.LBB6_1658:                             ;   Parent Loop BB6_1570 Depth=1
                                        ; =>  This Inner Loop Header: Depth=2
	s_sleep 1
	global_store_dwordx2 v[2:3], v[10:11], off
	v_mov_b32_e32 v8, s0
	v_mov_b32_e32 v9, s1
	buffer_wbl2 sc0 sc1
	s_waitcnt vmcnt(0)
	global_atomic_cmpswap_x2 v[8:9], v29, v[8:11], s[2:3] offset:24 sc0 sc1
	s_waitcnt vmcnt(0)
	v_cmp_eq_u64_e32 vcc, v[8:9], v[10:11]
	s_or_b64 s[10:11], vcc, s[10:11]
	v_mov_b64_e32 v[10:11], v[8:9]
	s_andn2_b64 exec, exec, s[10:11]
	s_cbranch_execnz .LBB6_1658
	s_branch .LBB6_1569
.LBB6_1659:
	s_mov_b64 s[0:1], 0
	s_branch .LBB6_1661
.LBB6_1660:
	s_mov_b64 s[0:1], -1
.LBB6_1661:
	s_and_b64 vcc, exec, s[0:1]
	s_cbranch_vccz .LBB6_1688
; %bb.1662:
	v_readfirstlane_b32 s0, v32
	s_waitcnt vmcnt(0)
	v_mov_b64_e32 v[8:9], 0
	v_cmp_eq_u32_e64 s[0:1], s0, v32
	s_and_saveexec_b64 s[4:5], s[0:1]
	s_cbranch_execz .LBB6_1668
; %bb.1663:
	v_mov_b32_e32 v2, 0
	global_load_dwordx2 v[6:7], v2, s[2:3] offset:24 sc0 sc1
	s_waitcnt vmcnt(0)
	buffer_inv sc0 sc1
	global_load_dwordx2 v[4:5], v2, s[2:3] offset:40
	global_load_dwordx2 v[8:9], v2, s[2:3]
	s_waitcnt vmcnt(1)
	v_and_b32_e32 v3, v4, v6
	v_and_b32_e32 v4, v5, v7
	v_mul_lo_u32 v4, v4, 24
	v_mul_hi_u32 v5, v3, 24
	v_add_u32_e32 v5, v5, v4
	v_mul_lo_u32 v4, v3, 24
	s_waitcnt vmcnt(0)
	v_lshl_add_u64 v[4:5], v[8:9], 0, v[4:5]
	global_load_dwordx2 v[4:5], v[4:5], off sc0 sc1
	s_waitcnt vmcnt(0)
	global_atomic_cmpswap_x2 v[8:9], v2, v[4:7], s[2:3] offset:24 sc0 sc1
	s_waitcnt vmcnt(0)
	buffer_inv sc0 sc1
	v_cmp_ne_u64_e32 vcc, v[8:9], v[6:7]
	s_and_saveexec_b64 s[6:7], vcc
	s_cbranch_execz .LBB6_1667
; %bb.1664:
	s_mov_b64 s[8:9], 0
.LBB6_1665:                             ; =>This Inner Loop Header: Depth=1
	s_sleep 1
	global_load_dwordx2 v[4:5], v2, s[2:3] offset:40
	global_load_dwordx2 v[10:11], v2, s[2:3]
	v_mov_b64_e32 v[6:7], v[8:9]
	s_waitcnt vmcnt(1)
	v_and_b32_e32 v4, v4, v6
	v_and_b32_e32 v3, v5, v7
	s_waitcnt vmcnt(0)
	v_mad_u64_u32 v[4:5], s[10:11], v4, 24, v[10:11]
	v_mov_b32_e32 v8, v5
	v_mad_u64_u32 v[8:9], s[10:11], v3, 24, v[8:9]
	v_mov_b32_e32 v5, v8
	global_load_dwordx2 v[4:5], v[4:5], off sc0 sc1
	s_waitcnt vmcnt(0)
	global_atomic_cmpswap_x2 v[8:9], v2, v[4:7], s[2:3] offset:24 sc0 sc1
	s_waitcnt vmcnt(0)
	buffer_inv sc0 sc1
	v_cmp_eq_u64_e32 vcc, v[8:9], v[6:7]
	s_or_b64 s[8:9], vcc, s[8:9]
	s_andn2_b64 exec, exec, s[8:9]
	s_cbranch_execnz .LBB6_1665
; %bb.1666:
	s_or_b64 exec, exec, s[8:9]
.LBB6_1667:
	s_or_b64 exec, exec, s[6:7]
.LBB6_1668:
	s_or_b64 exec, exec, s[4:5]
	v_mov_b32_e32 v2, 0
	global_load_dwordx2 v[10:11], v2, s[2:3] offset:40
	global_load_dwordx4 v[4:7], v2, s[2:3]
	v_readfirstlane_b32 s5, v9
	v_readfirstlane_b32 s4, v8
	s_mov_b64 s[6:7], exec
	s_waitcnt vmcnt(1)
	v_readfirstlane_b32 s8, v10
	v_readfirstlane_b32 s9, v11
	s_and_b64 s[8:9], s[8:9], s[4:5]
	s_mul_i32 s10, s9, 24
	s_mul_hi_u32 s11, s8, 24
	s_add_i32 s11, s11, s10
	s_mul_i32 s10, s8, 24
	s_waitcnt vmcnt(0)
	v_lshl_add_u64 v[8:9], v[4:5], 0, s[10:11]
	s_and_saveexec_b64 s[10:11], s[0:1]
	s_cbranch_execz .LBB6_1670
; %bb.1669:
	v_mov_b64_e32 v[10:11], s[6:7]
	v_mov_b32_e32 v12, 2
	v_mov_b32_e32 v13, 1
	global_store_dwordx4 v[8:9], v[10:13], off offset:8
.LBB6_1670:
	s_or_b64 exec, exec, s[10:11]
	s_lshl_b64 s[6:7], s[8:9], 12
	v_lshl_add_u64 v[6:7], v[6:7], 0, s[6:7]
	s_movk_i32 s6, 0xff1d
	s_mov_b32 s8, 0
	v_and_or_b32 v0, v0, s6, 34
	v_mov_b32_e32 v3, v2
	v_readfirstlane_b32 s6, v6
	v_readfirstlane_b32 s7, v7
	s_mov_b32 s9, s8
	s_mov_b32 s10, s8
	s_mov_b32 s11, s8
	s_nop 1
	global_store_dwordx4 v26, v[0:3], s[6:7]
	s_nop 1
	v_mov_b64_e32 v[0:1], s[8:9]
	v_mov_b64_e32 v[2:3], s[10:11]
	global_store_dwordx4 v26, v[0:3], s[6:7] offset:16
	global_store_dwordx4 v26, v[0:3], s[6:7] offset:32
	;; [unrolled: 1-line block ×3, first 2 shown]
	s_and_saveexec_b64 s[6:7], s[0:1]
	s_cbranch_execz .LBB6_1678
; %bb.1671:
	v_mov_b32_e32 v6, 0
	global_load_dwordx2 v[12:13], v6, s[2:3] offset:32 sc0 sc1
	global_load_dwordx2 v[0:1], v6, s[2:3] offset:40
	v_mov_b32_e32 v10, s4
	v_mov_b32_e32 v11, s5
	s_waitcnt vmcnt(0)
	v_readfirstlane_b32 s8, v0
	v_readfirstlane_b32 s9, v1
	s_and_b64 s[8:9], s[8:9], s[4:5]
	s_mul_i32 s9, s9, 24
	s_mul_hi_u32 s10, s8, 24
	s_mul_i32 s8, s8, 24
	s_add_i32 s9, s10, s9
	v_lshl_add_u64 v[4:5], v[4:5], 0, s[8:9]
	global_store_dwordx2 v[4:5], v[12:13], off
	buffer_wbl2 sc0 sc1
	s_waitcnt vmcnt(0)
	global_atomic_cmpswap_x2 v[2:3], v6, v[10:13], s[2:3] offset:32 sc0 sc1
	s_waitcnt vmcnt(0)
	v_cmp_ne_u64_e32 vcc, v[2:3], v[12:13]
	s_and_saveexec_b64 s[8:9], vcc
	s_cbranch_execz .LBB6_1674
; %bb.1672:
	s_mov_b64 s[10:11], 0
.LBB6_1673:                             ; =>This Inner Loop Header: Depth=1
	s_sleep 1
	global_store_dwordx2 v[4:5], v[2:3], off
	v_mov_b32_e32 v0, s4
	v_mov_b32_e32 v1, s5
	buffer_wbl2 sc0 sc1
	s_waitcnt vmcnt(0)
	global_atomic_cmpswap_x2 v[0:1], v6, v[0:3], s[2:3] offset:32 sc0 sc1
	s_waitcnt vmcnt(0)
	v_cmp_eq_u64_e32 vcc, v[0:1], v[2:3]
	s_or_b64 s[10:11], vcc, s[10:11]
	v_mov_b64_e32 v[2:3], v[0:1]
	s_andn2_b64 exec, exec, s[10:11]
	s_cbranch_execnz .LBB6_1673
.LBB6_1674:
	s_or_b64 exec, exec, s[8:9]
	v_mov_b32_e32 v3, 0
	global_load_dwordx2 v[0:1], v3, s[2:3] offset:16
	s_mov_b64 s[8:9], exec
	v_mbcnt_lo_u32_b32 v2, s8, 0
	v_mbcnt_hi_u32_b32 v2, s9, v2
	v_cmp_eq_u32_e32 vcc, 0, v2
	s_and_saveexec_b64 s[10:11], vcc
	s_cbranch_execz .LBB6_1676
; %bb.1675:
	s_bcnt1_i32_b64 s8, s[8:9]
	v_mov_b32_e32 v2, s8
	buffer_wbl2 sc0 sc1
	s_waitcnt vmcnt(0)
	global_atomic_add_x2 v[0:1], v[2:3], off offset:8 sc1
.LBB6_1676:
	s_or_b64 exec, exec, s[10:11]
	s_waitcnt vmcnt(0)
	global_load_dwordx2 v[2:3], v[0:1], off offset:16
	s_waitcnt vmcnt(0)
	v_cmp_eq_u64_e32 vcc, 0, v[2:3]
	s_cbranch_vccnz .LBB6_1678
; %bb.1677:
	global_load_dword v0, v[0:1], off offset:24
	v_mov_b32_e32 v1, 0
	s_waitcnt vmcnt(0)
	v_readfirstlane_b32 s8, v0
	s_and_b32 m0, s8, 0xffffff
	buffer_wbl2 sc0 sc1
	global_store_dwordx2 v[2:3], v[0:1], off sc0 sc1
	s_sendmsg sendmsg(MSG_INTERRUPT)
.LBB6_1678:
	s_or_b64 exec, exec, s[6:7]
	s_branch .LBB6_1682
.LBB6_1679:                             ;   in Loop: Header=BB6_1682 Depth=1
	s_or_b64 exec, exec, s[6:7]
	v_readfirstlane_b32 s6, v0
	s_cmp_eq_u32 s6, 0
	s_cbranch_scc1 .LBB6_1681
; %bb.1680:                             ;   in Loop: Header=BB6_1682 Depth=1
	s_sleep 1
	s_cbranch_execnz .LBB6_1682
	s_branch .LBB6_1684
.LBB6_1681:
	s_branch .LBB6_1684
.LBB6_1682:                             ; =>This Inner Loop Header: Depth=1
	v_mov_b32_e32 v0, 1
	s_and_saveexec_b64 s[6:7], s[0:1]
	s_cbranch_execz .LBB6_1679
; %bb.1683:                             ;   in Loop: Header=BB6_1682 Depth=1
	global_load_dword v0, v[8:9], off offset:20 sc0 sc1
	s_waitcnt vmcnt(0)
	buffer_inv sc0 sc1
	v_and_b32_e32 v0, 1, v0
	s_branch .LBB6_1679
.LBB6_1684:
	s_and_saveexec_b64 s[6:7], s[0:1]
	s_cbranch_execz .LBB6_1687
; %bb.1685:
	v_mov_b32_e32 v6, 0
	global_load_dwordx2 v[0:1], v6, s[2:3] offset:40
	global_load_dwordx2 v[10:11], v6, s[2:3] offset:24 sc0 sc1
	global_load_dwordx2 v[2:3], v6, s[2:3]
	s_waitcnt vmcnt(2)
	v_readfirstlane_b32 s8, v0
	v_readfirstlane_b32 s9, v1
	s_add_u32 s10, s8, 1
	s_addc_u32 s11, s9, 0
	s_add_u32 s0, s10, s4
	s_addc_u32 s1, s11, s5
	s_cmp_eq_u64 s[0:1], 0
	s_cselect_b32 s1, s11, s1
	s_cselect_b32 s0, s10, s0
	s_and_b64 s[4:5], s[0:1], s[8:9]
	s_mul_i32 s5, s5, 24
	s_mul_hi_u32 s8, s4, 24
	s_mul_i32 s4, s4, 24
	s_add_i32 s5, s8, s5
	s_waitcnt vmcnt(0)
	v_lshl_add_u64 v[4:5], v[2:3], 0, s[4:5]
	v_mov_b32_e32 v8, s0
	global_store_dwordx2 v[4:5], v[10:11], off
	v_mov_b32_e32 v9, s1
	buffer_wbl2 sc0 sc1
	s_waitcnt vmcnt(0)
	global_atomic_cmpswap_x2 v[2:3], v6, v[8:11], s[2:3] offset:24 sc0 sc1
	s_mov_b64 s[4:5], 0
	s_waitcnt vmcnt(0)
	v_cmp_ne_u64_e32 vcc, v[2:3], v[10:11]
	s_and_b64 exec, exec, vcc
	s_cbranch_execz .LBB6_1687
.LBB6_1686:                             ; =>This Inner Loop Header: Depth=1
	s_sleep 1
	global_store_dwordx2 v[4:5], v[2:3], off
	v_mov_b32_e32 v0, s0
	v_mov_b32_e32 v1, s1
	buffer_wbl2 sc0 sc1
	s_waitcnt vmcnt(0)
	global_atomic_cmpswap_x2 v[0:1], v6, v[0:3], s[2:3] offset:24 sc0 sc1
	s_waitcnt vmcnt(0)
	v_cmp_eq_u64_e32 vcc, v[0:1], v[2:3]
	s_or_b64 s[4:5], vcc, s[4:5]
	v_mov_b64_e32 v[2:3], v[0:1]
	s_andn2_b64 exec, exec, s[4:5]
	s_cbranch_execnz .LBB6_1686
.LBB6_1687:
	s_or_b64 exec, exec, s[6:7]
.LBB6_1688:
	s_getpc_b64 s[0:1]
	s_add_u32 s0, s0, .str.29@rel32@lo+4
	s_addc_u32 s1, s1, .str.29@rel32@hi+12
	s_getpc_b64 s[2:3]
	s_add_u32 s2, s2, .str.19@rel32@lo+4
	s_addc_u32 s3, s3, .str.19@rel32@hi+12
	s_getpc_b64 s[4:5]
	s_add_u32 s4, s4, __PRETTY_FUNCTION__._ZN7VecsMemIjLi8192EE5fetchEi@rel32@lo+4
	s_addc_u32 s5, s5, __PRETTY_FUNCTION__._ZN7VecsMemIjLi8192EE5fetchEi@rel32@hi+12
	s_getpc_b64 s[6:7]
	s_add_u32 s6, s6, __assert_fail@rel32@lo+4
	s_addc_u32 s7, s7, __assert_fail@rel32@hi+12
	s_mov_b64 s[8:9], s[64:65]
	s_waitcnt vmcnt(0)
	v_mov_b32_e32 v0, s0
	v_mov_b32_e32 v1, s1
	v_mov_b32_e32 v2, s2
	v_mov_b32_e32 v3, s3
	v_mov_b32_e32 v4, 12
	v_mov_b32_e32 v5, s4
	v_mov_b32_e32 v6, s5
	s_swappc_b64 s[30:31], s[6:7]
	s_or_b64 s[24:25], s[24:25], exec
.LBB6_1689:
	s_or_b64 exec, exec, s[26:27]
	v_readlane_b32 s2, v47, 6
	v_readlane_b32 s3, v47, 7
	s_andn2_b64 s[0:1], s[2:3], exec
	s_and_b64 s[4:5], s[24:25], exec
	s_or_b64 s[34:35], s[0:1], s[4:5]
	s_and_b64 s[38:39], s[22:23], exec
	v_readlane_b32 s62, v47, 40
	v_readlane_b32 s28, v47, 26
	;; [unrolled: 1-line block ×29, first 2 shown]
	s_mov_b64 s[72:73], 0
	v_readlane_b32 s75, v47, 29
	v_readlane_b32 s77, v47, 9
	;; [unrolled: 1-line block ×11, first 2 shown]
                                        ; implicit-def: $vgpr58_vgpr59
                                        ; implicit-def: $vgpr42_vgpr43
                                        ; implicit-def: $vgpr44
                                        ; implicit-def: $vgpr53
.LBB6_1690:
	s_andn2_saveexec_b64 s[0:1], s[0:1]
	s_cbranch_execz .LBB6_1907
; %bb.1691:
	v_writelane_b32 v47, s0, 26
	s_getpc_b64 s[48:49]
	s_add_u32 s48, s48, _ZN3sop12sopFactorRecEPNS_3SopEiP7VecsMemIjLi8192EEPN8subgUtil4SubgILi256EEE@rel32@lo+4
	s_addc_u32 s49, s49, _ZN3sop12sopFactorRecEPNS_3SopEiP7VecsMemIjLi8192EEPN8subgUtil4SubgILi256EEE@rel32@hi+12
	v_writelane_b32 v47, s1, 27
	s_mov_b64 s[36:37], src_private_base
	s_add_i32 s0, s33, 0x68
	v_writelane_b32 v47, s88, 36
	s_mov_b64 s[8:9], s[64:65]
	v_mov_b32_e32 v0, s0
	v_mov_b32_e32 v1, s37
	;; [unrolled: 1-line block ×7, first 2 shown]
	v_writelane_b32 v47, s89, 37
	v_mov_b32_e32 v57, v53
	s_mov_b64 s[96:97], s[58:59]
	s_mov_b64 s[86:87], s[24:25]
	;; [unrolled: 1-line block ×4, first 2 shown]
	s_swappc_b64 s[30:31], s[48:49]
	s_add_i32 s0, s33, 0x78
	v_mov_b32_e32 v40, v0
	s_mov_b64 s[8:9], s[64:65]
	v_mov_b32_e32 v0, s0
	v_mov_b32_e32 v1, s37
	;; [unrolled: 1-line block ×7, first 2 shown]
	s_swappc_b64 s[30:31], s[48:49]
	flat_load_dword v2, v[42:43]
	s_movk_i32 s0, 0xff
	s_waitcnt vmcnt(0) lgkmcnt(0)
	v_cmp_lt_i32_e32 vcc, s0, v2
	s_mov_b64 s[0:1], s[34:35]
	s_and_saveexec_b64 s[2:3], vcc
	s_xor_b64 s[22:23], exec, s[2:3]
	s_cbranch_execz .LBB6_1693
; %bb.1692:
	s_getpc_b64 s[0:1]
	s_add_u32 s0, s0, .str.43@rel32@lo+4
	s_addc_u32 s1, s1, .str.43@rel32@hi+12
	s_getpc_b64 s[2:3]
	s_add_u32 s2, s2, .str.44@rel32@lo+4
	s_addc_u32 s3, s3, .str.44@rel32@hi+12
	s_getpc_b64 s[4:5]
	s_add_u32 s4, s4, __PRETTY_FUNCTION__._ZN8subgUtil4SubgILi256EE10addNodeAndEii@rel32@lo+4
	s_addc_u32 s5, s5, __PRETTY_FUNCTION__._ZN8subgUtil4SubgILi256EE10addNodeAndEii@rel32@hi+12
	s_getpc_b64 s[6:7]
	s_add_u32 s6, s6, __assert_fail@rel32@lo+4
	s_addc_u32 s7, s7, __assert_fail@rel32@hi+12
	s_mov_b64 s[8:9], s[64:65]
	v_mov_b32_e32 v0, s0
	v_mov_b32_e32 v1, s1
	;; [unrolled: 1-line block ×7, first 2 shown]
	s_swappc_b64 s[30:31], s[6:7]
	s_or_b64 s[0:1], s[34:35], exec
                                        ; implicit-def: $vgpr0
                                        ; implicit-def: $vgpr40
                                        ; implicit-def: $vgpr2
                                        ; implicit-def: $vgpr42_vgpr43
                                        ; implicit-def: $vgpr57
                                        ; implicit-def: $vgpr58_vgpr59
                                        ; implicit-def: $vgpr44
.LBB6_1693:
	s_or_saveexec_b64 s[36:37], s[22:23]
	s_mov_b64 s[2:3], s[38:39]
                                        ; implicit-def: $vgpr41
	s_xor_b64 exec, exec, s[36:37]
	s_cbranch_execz .LBB6_1906
; %bb.1694:
	v_writelane_b32 v47, s34, 16
	v_or_b32_e32 v1, v0, v40
	v_cmp_lt_i32_e32 vcc, -1, v1
	v_writelane_b32 v47, s35, 17
	v_writelane_b32 v47, s38, 20
	s_mov_b64 s[22:23], s[38:39]
	s_mov_b64 s[34:35], s[0:1]
	;; [unrolled: 1-line block ×3, first 2 shown]
	v_writelane_b32 v47, s39, 21
                                        ; implicit-def: $vgpr41
	s_and_saveexec_b64 s[0:1], vcc
	s_xor_b64 s[38:39], exec, s[0:1]
	s_cbranch_execz .LBB6_1903
; %bb.1695:
	v_add_u32_e32 v3, 1, v2
	v_min_i32_e32 v1, v40, v0
	v_max_i32_e32 v0, v40, v0
	flat_store_dword v[42:43], v3
	v_ashrrev_i32_e32 v3, 31, v2
	v_lshlrev_b32_e32 v0, 1, v0
	v_lshl_add_u64 v[4:5], v[2:3], 3, v[42:43]
	v_lshlrev_b32_e32 v41, 1, v2
	v_cmp_ne_u32_e32 vcc, v56, v57
	s_mov_b64 s[0:1], -1
	s_mov_b64 s[2:3], s[34:35]
	flat_store_dwordx2 v[4:5], v[0:1] offset:8
	s_and_saveexec_b64 s[48:49], vcc
	s_cbranch_execz .LBB6_1902
; %bb.1696:
	s_mov_b64 s[0:1], src_private_base
	s_getpc_b64 s[2:3]
	s_add_u32 s2, s2, _ZN3sop12sopFactorRecEPNS_3SopEiP7VecsMemIjLi8192EEPN8subgUtil4SubgILi256EEE@rel32@lo+4
	s_addc_u32 s3, s3, _ZN3sop12sopFactorRecEPNS_3SopEiP7VecsMemIjLi8192EEPN8subgUtil4SubgILi256EEE@rel32@hi+12
	s_add_i32 s0, s33, 0x88
	s_mov_b64 s[8:9], s[64:65]
	v_mov_b32_e32 v0, s0
	v_mov_b32_e32 v1, s1
	v_mov_b32_e32 v2, v44
	v_mov_b32_e32 v3, v58
	v_mov_b32_e32 v4, v59
	v_mov_b32_e32 v5, v42
	v_mov_b32_e32 v6, v43
	s_swappc_b64 s[30:31], s[2:3]
	flat_load_dword v1, v[42:43]
	s_movk_i32 s0, 0xff
	s_mov_b64 s[22:23], s[34:35]
	s_waitcnt vmcnt(0) lgkmcnt(0)
	v_cmp_lt_i32_e32 vcc, s0, v1
	s_and_saveexec_b64 s[0:1], vcc
	s_xor_b64 s[24:25], exec, s[0:1]
	s_cbranch_execz .LBB6_1698
; %bb.1697:
	s_getpc_b64 s[0:1]
	s_add_u32 s0, s0, .str.43@rel32@lo+4
	s_addc_u32 s1, s1, .str.43@rel32@hi+12
	s_getpc_b64 s[2:3]
	s_add_u32 s2, s2, .str.44@rel32@lo+4
	s_addc_u32 s3, s3, .str.44@rel32@hi+12
	s_getpc_b64 s[4:5]
	s_add_u32 s4, s4, __PRETTY_FUNCTION__._ZN8subgUtil4SubgILi256EE9addNodeOrEii@rel32@lo+4
	s_addc_u32 s5, s5, __PRETTY_FUNCTION__._ZN8subgUtil4SubgILi256EE9addNodeOrEii@rel32@hi+12
	s_getpc_b64 s[6:7]
	s_add_u32 s6, s6, __assert_fail@rel32@lo+4
	s_addc_u32 s7, s7, __assert_fail@rel32@hi+12
	s_mov_b64 s[8:9], s[64:65]
	v_mov_b32_e32 v0, s0
	v_mov_b32_e32 v1, s1
	;; [unrolled: 1-line block ×7, first 2 shown]
	s_swappc_b64 s[30:31], s[6:7]
	s_or_b64 s[22:23], s[34:35], exec
                                        ; implicit-def: $vgpr0
                                        ; implicit-def: $vgpr41
                                        ; implicit-def: $vgpr42_vgpr43
.LBB6_1698:
	s_or_saveexec_b64 s[24:25], s[24:25]
	s_mov_b64 s[0:1], 0
	s_xor_b64 exec, exec, s[24:25]
	s_cbranch_execz .LBB6_1901
; %bb.1699:
	v_max_i32_e32 v4, v41, v0
	v_min_i32_e32 v39, v41, v0
	v_xor_b32_e32 v1, 1, v39
	v_xor_b32_e32 v38, 1, v4
	v_cmp_gt_i32_e64 s[0:1], v1, v38
	s_and_saveexec_b64 s[4:5], s[0:1]
	s_cbranch_execz .LBB6_1896
; %bb.1700:
	s_load_dwordx2 s[6:7], s[64:65], 0x50
	v_mbcnt_lo_u32_b32 v2, -1, 0
	v_mbcnt_hi_u32_b32 v5, -1, v2
	v_mov_b64_e32 v[2:3], 0
	v_readfirstlane_b32 s2, v5
	s_nop 1
	v_cmp_eq_u32_e64 s[2:3], s2, v5
	s_and_saveexec_b64 s[8:9], s[2:3]
	s_cbranch_execz .LBB6_1706
; %bb.1701:
	v_mov_b32_e32 v6, 0
	s_waitcnt lgkmcnt(0)
	global_load_dwordx2 v[10:11], v6, s[6:7] offset:24 sc0 sc1
	s_waitcnt vmcnt(0)
	buffer_inv sc0 sc1
	global_load_dwordx2 v[2:3], v6, s[6:7] offset:40
	global_load_dwordx2 v[8:9], v6, s[6:7]
	s_waitcnt vmcnt(1)
	v_and_b32_e32 v2, v2, v10
	v_and_b32_e32 v3, v3, v11
	v_mul_lo_u32 v3, v3, 24
	v_mul_hi_u32 v7, v2, 24
	v_add_u32_e32 v3, v7, v3
	v_mul_lo_u32 v2, v2, 24
	s_waitcnt vmcnt(0)
	v_lshl_add_u64 v[2:3], v[8:9], 0, v[2:3]
	global_load_dwordx2 v[8:9], v[2:3], off sc0 sc1
	s_waitcnt vmcnt(0)
	global_atomic_cmpswap_x2 v[2:3], v6, v[8:11], s[6:7] offset:24 sc0 sc1
	s_waitcnt vmcnt(0)
	buffer_inv sc0 sc1
	v_cmp_ne_u64_e32 vcc, v[2:3], v[10:11]
	s_and_saveexec_b64 s[10:11], vcc
	s_cbranch_execz .LBB6_1705
; %bb.1702:
	s_mov_b64 s[12:13], 0
.LBB6_1703:                             ; =>This Inner Loop Header: Depth=1
	s_sleep 1
	global_load_dwordx2 v[8:9], v6, s[6:7] offset:40
	global_load_dwordx2 v[12:13], v6, s[6:7]
	v_mov_b64_e32 v[10:11], v[2:3]
	s_waitcnt vmcnt(1)
	v_and_b32_e32 v2, v8, v10
	s_waitcnt vmcnt(0)
	v_mad_u64_u32 v[2:3], s[14:15], v2, 24, v[12:13]
	v_and_b32_e32 v7, v9, v11
	v_mov_b32_e32 v8, v3
	v_mad_u64_u32 v[8:9], s[14:15], v7, 24, v[8:9]
	v_mov_b32_e32 v3, v8
	global_load_dwordx2 v[8:9], v[2:3], off sc0 sc1
	s_waitcnt vmcnt(0)
	global_atomic_cmpswap_x2 v[2:3], v6, v[8:11], s[6:7] offset:24 sc0 sc1
	s_waitcnt vmcnt(0)
	buffer_inv sc0 sc1
	v_cmp_eq_u64_e32 vcc, v[2:3], v[10:11]
	s_or_b64 s[12:13], vcc, s[12:13]
	s_andn2_b64 exec, exec, s[12:13]
	s_cbranch_execnz .LBB6_1703
; %bb.1704:
	s_or_b64 exec, exec, s[12:13]
.LBB6_1705:
	s_or_b64 exec, exec, s[10:11]
.LBB6_1706:
	s_or_b64 exec, exec, s[8:9]
	v_mov_b32_e32 v33, 0
	s_waitcnt lgkmcnt(0)
	global_load_dwordx2 v[10:11], v33, s[6:7] offset:40
	global_load_dwordx4 v[6:9], v33, s[6:7]
	v_readfirstlane_b32 s9, v3
	v_readfirstlane_b32 s8, v2
	s_mov_b64 s[10:11], exec
	s_waitcnt vmcnt(1)
	v_readfirstlane_b32 s12, v10
	v_readfirstlane_b32 s13, v11
	s_and_b64 s[12:13], s[12:13], s[8:9]
	s_mul_i32 s14, s13, 24
	s_mul_hi_u32 s15, s12, 24
	s_add_i32 s15, s15, s14
	s_mul_i32 s14, s12, 24
	s_waitcnt vmcnt(0)
	v_lshl_add_u64 v[2:3], v[6:7], 0, s[14:15]
	s_and_saveexec_b64 s[14:15], s[2:3]
	s_cbranch_execz .LBB6_1708
; %bb.1707:
	v_mov_b64_e32 v[10:11], s[10:11]
	v_mov_b32_e32 v12, 2
	v_mov_b32_e32 v13, 1
	global_store_dwordx4 v[2:3], v[10:13], off offset:8
.LBB6_1708:
	s_or_b64 exec, exec, s[14:15]
	s_lshl_b64 s[10:11], s[12:13], 12
	v_lshl_add_u64 v[10:11], v[8:9], 0, s[10:11]
	s_mov_b32 s12, 0
	v_lshlrev_b32_e32 v32, 6, v5
	v_mov_b32_e32 v12, 33
	v_mov_b32_e32 v13, v33
	;; [unrolled: 1-line block ×4, first 2 shown]
	v_readfirstlane_b32 s10, v10
	v_readfirstlane_b32 s11, v11
	s_mov_b32 s13, s12
	s_mov_b32 s14, s12
	;; [unrolled: 1-line block ×3, first 2 shown]
	s_nop 1
	global_store_dwordx4 v32, v[12:15], s[10:11]
	s_nop 1
	v_mov_b64_e32 v[12:13], s[12:13]
	v_mov_b64_e32 v[14:15], s[14:15]
	global_store_dwordx4 v32, v[12:15], s[10:11] offset:16
	global_store_dwordx4 v32, v[12:15], s[10:11] offset:32
	;; [unrolled: 1-line block ×3, first 2 shown]
	s_and_saveexec_b64 s[10:11], s[2:3]
	s_cbranch_execz .LBB6_1716
; %bb.1709:
	v_mov_b32_e32 v14, 0
	global_load_dwordx2 v[18:19], v14, s[6:7] offset:32 sc0 sc1
	global_load_dwordx2 v[8:9], v14, s[6:7] offset:40
	v_mov_b32_e32 v16, s8
	v_mov_b32_e32 v17, s9
	s_waitcnt vmcnt(0)
	v_and_b32_e32 v8, s8, v8
	v_and_b32_e32 v9, s9, v9
	v_mul_lo_u32 v9, v9, 24
	v_mul_hi_u32 v12, v8, 24
	v_mul_lo_u32 v8, v8, 24
	v_add_u32_e32 v9, v12, v9
	v_lshl_add_u64 v[12:13], v[6:7], 0, v[8:9]
	global_store_dwordx2 v[12:13], v[18:19], off
	buffer_wbl2 sc0 sc1
	s_waitcnt vmcnt(0)
	global_atomic_cmpswap_x2 v[8:9], v14, v[16:19], s[6:7] offset:32 sc0 sc1
	s_waitcnt vmcnt(0)
	v_cmp_ne_u64_e32 vcc, v[8:9], v[18:19]
	s_and_saveexec_b64 s[12:13], vcc
	s_cbranch_execz .LBB6_1712
; %bb.1710:
	s_mov_b64 s[14:15], 0
.LBB6_1711:                             ; =>This Inner Loop Header: Depth=1
	s_sleep 1
	global_store_dwordx2 v[12:13], v[8:9], off
	v_mov_b32_e32 v6, s8
	v_mov_b32_e32 v7, s9
	buffer_wbl2 sc0 sc1
	s_waitcnt vmcnt(0)
	global_atomic_cmpswap_x2 v[6:7], v14, v[6:9], s[6:7] offset:32 sc0 sc1
	s_waitcnt vmcnt(0)
	v_cmp_eq_u64_e32 vcc, v[6:7], v[8:9]
	s_or_b64 s[14:15], vcc, s[14:15]
	v_mov_b64_e32 v[8:9], v[6:7]
	s_andn2_b64 exec, exec, s[14:15]
	s_cbranch_execnz .LBB6_1711
.LBB6_1712:
	s_or_b64 exec, exec, s[12:13]
	v_mov_b32_e32 v9, 0
	global_load_dwordx2 v[6:7], v9, s[6:7] offset:16
	s_mov_b64 s[12:13], exec
	v_mbcnt_lo_u32_b32 v8, s12, 0
	v_mbcnt_hi_u32_b32 v8, s13, v8
	v_cmp_eq_u32_e32 vcc, 0, v8
	s_and_saveexec_b64 s[14:15], vcc
	s_cbranch_execz .LBB6_1714
; %bb.1713:
	s_bcnt1_i32_b64 s12, s[12:13]
	v_mov_b32_e32 v8, s12
	buffer_wbl2 sc0 sc1
	s_waitcnt vmcnt(0)
	global_atomic_add_x2 v[6:7], v[8:9], off offset:8 sc1
.LBB6_1714:
	s_or_b64 exec, exec, s[14:15]
	s_waitcnt vmcnt(0)
	global_load_dwordx2 v[8:9], v[6:7], off offset:16
	s_waitcnt vmcnt(0)
	v_cmp_eq_u64_e32 vcc, 0, v[8:9]
	s_cbranch_vccnz .LBB6_1716
; %bb.1715:
	global_load_dword v6, v[6:7], off offset:24
	v_mov_b32_e32 v7, 0
	s_waitcnt vmcnt(0)
	v_readfirstlane_b32 s12, v6
	s_and_b32 m0, s12, 0xffffff
	buffer_wbl2 sc0 sc1
	global_store_dwordx2 v[8:9], v[6:7], off sc0 sc1
	s_sendmsg sendmsg(MSG_INTERRUPT)
.LBB6_1716:
	s_or_b64 exec, exec, s[10:11]
	v_lshl_add_u64 v[6:7], v[10:11], 0, v[32:33]
	s_branch .LBB6_1720
.LBB6_1717:                             ;   in Loop: Header=BB6_1720 Depth=1
	s_or_b64 exec, exec, s[10:11]
	v_readfirstlane_b32 s10, v8
	s_cmp_eq_u32 s10, 0
	s_cbranch_scc1 .LBB6_1719
; %bb.1718:                             ;   in Loop: Header=BB6_1720 Depth=1
	s_sleep 1
	s_cbranch_execnz .LBB6_1720
	s_branch .LBB6_1722
.LBB6_1719:
	s_branch .LBB6_1722
.LBB6_1720:                             ; =>This Inner Loop Header: Depth=1
	v_mov_b32_e32 v8, 1
	s_and_saveexec_b64 s[10:11], s[2:3]
	s_cbranch_execz .LBB6_1717
; %bb.1721:                             ;   in Loop: Header=BB6_1720 Depth=1
	global_load_dword v8, v[2:3], off offset:20 sc0 sc1
	s_waitcnt vmcnt(0)
	buffer_inv sc0 sc1
	v_and_b32_e32 v8, 1, v8
	s_branch .LBB6_1717
.LBB6_1722:
	global_load_dwordx2 v[6:7], v[6:7], off
	s_and_saveexec_b64 s[10:11], s[2:3]
	s_cbranch_execz .LBB6_1725
; %bb.1723:
	v_mov_b32_e32 v12, 0
	global_load_dwordx2 v[2:3], v12, s[6:7] offset:40
	global_load_dwordx2 v[16:17], v12, s[6:7] offset:24 sc0 sc1
	global_load_dwordx2 v[8:9], v12, s[6:7]
	s_waitcnt vmcnt(2)
	v_readfirstlane_b32 s12, v2
	v_readfirstlane_b32 s13, v3
	s_add_u32 s14, s12, 1
	s_addc_u32 s15, s13, 0
	s_add_u32 s2, s14, s8
	s_addc_u32 s3, s15, s9
	s_cmp_eq_u64 s[2:3], 0
	s_cselect_b32 s3, s15, s3
	s_cselect_b32 s2, s14, s2
	s_and_b64 s[8:9], s[2:3], s[12:13]
	s_mul_i32 s9, s9, 24
	s_mul_hi_u32 s12, s8, 24
	s_mul_i32 s8, s8, 24
	s_add_i32 s9, s12, s9
	s_waitcnt vmcnt(0)
	v_lshl_add_u64 v[2:3], v[8:9], 0, s[8:9]
	v_mov_b32_e32 v14, s2
	global_store_dwordx2 v[2:3], v[16:17], off
	v_mov_b32_e32 v15, s3
	buffer_wbl2 sc0 sc1
	s_waitcnt vmcnt(0)
	global_atomic_cmpswap_x2 v[10:11], v12, v[14:17], s[6:7] offset:24 sc0 sc1
	s_mov_b64 s[8:9], 0
	s_waitcnt vmcnt(0)
	v_cmp_ne_u64_e32 vcc, v[10:11], v[16:17]
	s_and_b64 exec, exec, vcc
	s_cbranch_execz .LBB6_1725
.LBB6_1724:                             ; =>This Inner Loop Header: Depth=1
	s_sleep 1
	global_store_dwordx2 v[2:3], v[10:11], off
	v_mov_b32_e32 v8, s2
	v_mov_b32_e32 v9, s3
	buffer_wbl2 sc0 sc1
	s_waitcnt vmcnt(0)
	global_atomic_cmpswap_x2 v[8:9], v12, v[8:11], s[6:7] offset:24 sc0 sc1
	s_waitcnt vmcnt(0)
	v_cmp_eq_u64_e32 vcc, v[8:9], v[10:11]
	s_or_b64 s[8:9], vcc, s[8:9]
	v_mov_b64_e32 v[10:11], v[8:9]
	s_andn2_b64 exec, exec, s[8:9]
	s_cbranch_execnz .LBB6_1724
.LBB6_1725:
	s_or_b64 exec, exec, s[10:11]
	s_getpc_b64 s[8:9]
	s_add_u32 s8, s8, .str.45@rel32@lo+4
	s_addc_u32 s9, s9, .str.45@rel32@hi+12
	s_cmp_lg_u64 s[8:9], 0
	s_cbranch_scc0 .LBB6_1818
; %bb.1726:
	s_waitcnt vmcnt(0)
	v_and_b32_e32 v2, 2, v6
	v_mov_b32_e32 v35, 0
	v_and_b32_e32 v8, -3, v6
	v_mov_b32_e32 v9, v7
	s_mov_b64 s[10:11], 7
	v_mov_b32_e32 v14, 2
	v_mov_b32_e32 v15, 1
	s_branch .LBB6_1728
.LBB6_1727:                             ;   in Loop: Header=BB6_1728 Depth=1
	s_or_b64 exec, exec, s[16:17]
	s_sub_u32 s10, s10, s12
	s_subb_u32 s11, s11, s13
	s_add_u32 s8, s8, s12
	s_addc_u32 s9, s9, s13
	s_cmp_lg_u64 s[10:11], 0
	s_cbranch_scc0 .LBB6_1817
.LBB6_1728:                             ; =>This Loop Header: Depth=1
                                        ;     Child Loop BB6_1731 Depth 2
                                        ;     Child Loop BB6_1740 Depth 2
	;; [unrolled: 1-line block ×11, first 2 shown]
	v_cmp_lt_u64_e64 s[2:3], s[10:11], 56
	s_and_b64 s[2:3], s[2:3], exec
	s_cselect_b32 s13, s11, 0
	s_cselect_b32 s12, s10, 56
	v_cmp_gt_u64_e64 s[14:15], s[10:11], 7
	s_add_u32 s2, s8, 8
	s_addc_u32 s3, s9, 0
	s_and_b64 vcc, exec, s[14:15]
	s_cbranch_vccnz .LBB6_1732
; %bb.1729:                             ;   in Loop: Header=BB6_1728 Depth=1
	s_cmp_eq_u64 s[10:11], 0
	s_cbranch_scc1 .LBB6_1733
; %bb.1730:                             ;   in Loop: Header=BB6_1728 Depth=1
	s_lshl_b64 s[2:3], s[12:13], 3
	s_mov_b64 s[14:15], 0
	v_mov_b64_e32 v[10:11], 0
	s_mov_b64 s[16:17], s[8:9]
.LBB6_1731:                             ;   Parent Loop BB6_1728 Depth=1
                                        ; =>  This Inner Loop Header: Depth=2
	global_load_ubyte v3, v35, s[16:17]
	s_waitcnt vmcnt(0)
	v_and_b32_e32 v34, 0xffff, v3
	v_lshlrev_b64 v[12:13], s14, v[34:35]
	s_add_u32 s14, s14, 8
	s_addc_u32 s15, s15, 0
	s_add_u32 s16, s16, 1
	s_addc_u32 s17, s17, 0
	v_or_b32_e32 v10, v12, v10
	s_cmp_lg_u32 s2, s14
	v_or_b32_e32 v11, v13, v11
	s_cbranch_scc1 .LBB6_1731
	s_branch .LBB6_1734
.LBB6_1732:                             ;   in Loop: Header=BB6_1728 Depth=1
	s_mov_b64 s[14:15], -1
	s_branch .LBB6_1735
.LBB6_1733:                             ;   in Loop: Header=BB6_1728 Depth=1
	v_mov_b64_e32 v[10:11], 0
.LBB6_1734:                             ;   in Loop: Header=BB6_1728 Depth=1
	s_mov_b64 s[14:15], 0
	s_mov_b64 s[2:3], s[8:9]
.LBB6_1735:                             ;   in Loop: Header=BB6_1728 Depth=1
	s_andn2_b64 vcc, exec, s[14:15]
	s_mov_b32 s18, 0
	s_cbranch_vccnz .LBB6_1737
; %bb.1736:                             ;   in Loop: Header=BB6_1728 Depth=1
	global_load_dwordx2 v[10:11], v35, s[8:9]
	s_add_i32 s18, s12, -8
.LBB6_1737:                             ;   in Loop: Header=BB6_1728 Depth=1
	s_add_u32 s14, s2, 8
	s_addc_u32 s15, s3, 0
	s_cmp_gt_u32 s18, 7
	s_cbranch_scc1 .LBB6_1741
; %bb.1738:                             ;   in Loop: Header=BB6_1728 Depth=1
	s_cmp_eq_u32 s18, 0
	s_cbranch_scc1 .LBB6_1742
; %bb.1739:                             ;   in Loop: Header=BB6_1728 Depth=1
	s_mov_b64 s[14:15], 0
	v_mov_b64_e32 v[16:17], 0
	s_mov_b64 s[16:17], 0
.LBB6_1740:                             ;   Parent Loop BB6_1728 Depth=1
                                        ; =>  This Inner Loop Header: Depth=2
	s_add_u32 s20, s2, s16
	s_addc_u32 s21, s3, s17
	global_load_ubyte v3, v35, s[20:21]
	s_add_u32 s16, s16, 1
	s_addc_u32 s17, s17, 0
	s_waitcnt vmcnt(0)
	v_and_b32_e32 v34, 0xffff, v3
	v_lshlrev_b64 v[12:13], s14, v[34:35]
	s_add_u32 s14, s14, 8
	s_addc_u32 s15, s15, 0
	v_or_b32_e32 v16, v12, v16
	s_cmp_lg_u32 s18, s16
	v_or_b32_e32 v17, v13, v17
	s_cbranch_scc1 .LBB6_1740
	s_branch .LBB6_1743
.LBB6_1741:                             ;   in Loop: Header=BB6_1728 Depth=1
	s_mov_b64 s[16:17], -1
                                        ; implicit-def: $vgpr16_vgpr17
	s_branch .LBB6_1744
.LBB6_1742:                             ;   in Loop: Header=BB6_1728 Depth=1
	v_mov_b64_e32 v[16:17], 0
.LBB6_1743:                             ;   in Loop: Header=BB6_1728 Depth=1
	s_mov_b64 s[16:17], 0
	s_mov_b64 s[14:15], s[2:3]
.LBB6_1744:                             ;   in Loop: Header=BB6_1728 Depth=1
	s_andn2_b64 vcc, exec, s[16:17]
	s_mov_b32 s19, 0
	s_cbranch_vccnz .LBB6_1746
; %bb.1745:                             ;   in Loop: Header=BB6_1728 Depth=1
	global_load_dwordx2 v[16:17], v35, s[2:3]
	s_add_i32 s19, s18, -8
.LBB6_1746:                             ;   in Loop: Header=BB6_1728 Depth=1
	s_add_u32 s2, s14, 8
	s_addc_u32 s3, s15, 0
	s_cmp_gt_u32 s19, 7
	s_cbranch_scc1 .LBB6_1750
; %bb.1747:                             ;   in Loop: Header=BB6_1728 Depth=1
	s_cmp_eq_u32 s19, 0
	s_cbranch_scc1 .LBB6_1751
; %bb.1748:                             ;   in Loop: Header=BB6_1728 Depth=1
	s_mov_b64 s[2:3], 0
	v_mov_b64_e32 v[18:19], 0
	s_mov_b64 s[16:17], 0
.LBB6_1749:                             ;   Parent Loop BB6_1728 Depth=1
                                        ; =>  This Inner Loop Header: Depth=2
	s_add_u32 s20, s14, s16
	s_addc_u32 s21, s15, s17
	global_load_ubyte v3, v35, s[20:21]
	s_add_u32 s16, s16, 1
	s_addc_u32 s17, s17, 0
	s_waitcnt vmcnt(0)
	v_and_b32_e32 v34, 0xffff, v3
	v_lshlrev_b64 v[12:13], s2, v[34:35]
	s_add_u32 s2, s2, 8
	s_addc_u32 s3, s3, 0
	v_or_b32_e32 v18, v12, v18
	s_cmp_lg_u32 s19, s16
	v_or_b32_e32 v19, v13, v19
	s_cbranch_scc1 .LBB6_1749
	s_branch .LBB6_1752
.LBB6_1750:                             ;   in Loop: Header=BB6_1728 Depth=1
	s_mov_b64 s[16:17], -1
	s_branch .LBB6_1753
.LBB6_1751:                             ;   in Loop: Header=BB6_1728 Depth=1
	v_mov_b64_e32 v[18:19], 0
.LBB6_1752:                             ;   in Loop: Header=BB6_1728 Depth=1
	s_mov_b64 s[16:17], 0
	s_mov_b64 s[2:3], s[14:15]
.LBB6_1753:                             ;   in Loop: Header=BB6_1728 Depth=1
	s_andn2_b64 vcc, exec, s[16:17]
	s_mov_b32 s18, 0
	s_cbranch_vccnz .LBB6_1755
; %bb.1754:                             ;   in Loop: Header=BB6_1728 Depth=1
	global_load_dwordx2 v[18:19], v35, s[14:15]
	s_add_i32 s18, s19, -8
.LBB6_1755:                             ;   in Loop: Header=BB6_1728 Depth=1
	s_add_u32 s14, s2, 8
	s_addc_u32 s15, s3, 0
	s_cmp_gt_u32 s18, 7
	s_cbranch_scc1 .LBB6_1759
; %bb.1756:                             ;   in Loop: Header=BB6_1728 Depth=1
	s_cmp_eq_u32 s18, 0
	s_cbranch_scc1 .LBB6_1760
; %bb.1757:                             ;   in Loop: Header=BB6_1728 Depth=1
	s_mov_b64 s[14:15], 0
	v_mov_b64_e32 v[20:21], 0
	s_mov_b64 s[16:17], 0
.LBB6_1758:                             ;   Parent Loop BB6_1728 Depth=1
                                        ; =>  This Inner Loop Header: Depth=2
	s_add_u32 s20, s2, s16
	s_addc_u32 s21, s3, s17
	global_load_ubyte v3, v35, s[20:21]
	s_add_u32 s16, s16, 1
	s_addc_u32 s17, s17, 0
	s_waitcnt vmcnt(0)
	v_and_b32_e32 v34, 0xffff, v3
	v_lshlrev_b64 v[12:13], s14, v[34:35]
	s_add_u32 s14, s14, 8
	s_addc_u32 s15, s15, 0
	v_or_b32_e32 v20, v12, v20
	s_cmp_lg_u32 s18, s16
	v_or_b32_e32 v21, v13, v21
	s_cbranch_scc1 .LBB6_1758
	s_branch .LBB6_1761
.LBB6_1759:                             ;   in Loop: Header=BB6_1728 Depth=1
	s_mov_b64 s[16:17], -1
                                        ; implicit-def: $vgpr20_vgpr21
	s_branch .LBB6_1762
.LBB6_1760:                             ;   in Loop: Header=BB6_1728 Depth=1
	v_mov_b64_e32 v[20:21], 0
.LBB6_1761:                             ;   in Loop: Header=BB6_1728 Depth=1
	s_mov_b64 s[16:17], 0
	s_mov_b64 s[14:15], s[2:3]
.LBB6_1762:                             ;   in Loop: Header=BB6_1728 Depth=1
	s_andn2_b64 vcc, exec, s[16:17]
	s_mov_b32 s19, 0
	s_cbranch_vccnz .LBB6_1764
; %bb.1763:                             ;   in Loop: Header=BB6_1728 Depth=1
	global_load_dwordx2 v[20:21], v35, s[2:3]
	s_add_i32 s19, s18, -8
.LBB6_1764:                             ;   in Loop: Header=BB6_1728 Depth=1
	s_add_u32 s2, s14, 8
	s_addc_u32 s3, s15, 0
	s_cmp_gt_u32 s19, 7
	s_cbranch_scc1 .LBB6_1768
; %bb.1765:                             ;   in Loop: Header=BB6_1728 Depth=1
	s_cmp_eq_u32 s19, 0
	s_cbranch_scc1 .LBB6_1769
; %bb.1766:                             ;   in Loop: Header=BB6_1728 Depth=1
	s_mov_b64 s[2:3], 0
	v_mov_b64_e32 v[22:23], 0
	s_mov_b64 s[16:17], 0
.LBB6_1767:                             ;   Parent Loop BB6_1728 Depth=1
                                        ; =>  This Inner Loop Header: Depth=2
	s_add_u32 s20, s14, s16
	s_addc_u32 s21, s15, s17
	global_load_ubyte v3, v35, s[20:21]
	s_add_u32 s16, s16, 1
	s_addc_u32 s17, s17, 0
	s_waitcnt vmcnt(0)
	v_and_b32_e32 v34, 0xffff, v3
	v_lshlrev_b64 v[12:13], s2, v[34:35]
	s_add_u32 s2, s2, 8
	s_addc_u32 s3, s3, 0
	v_or_b32_e32 v22, v12, v22
	s_cmp_lg_u32 s19, s16
	v_or_b32_e32 v23, v13, v23
	s_cbranch_scc1 .LBB6_1767
	s_branch .LBB6_1770
.LBB6_1768:                             ;   in Loop: Header=BB6_1728 Depth=1
	s_mov_b64 s[16:17], -1
	s_branch .LBB6_1771
.LBB6_1769:                             ;   in Loop: Header=BB6_1728 Depth=1
	v_mov_b64_e32 v[22:23], 0
.LBB6_1770:                             ;   in Loop: Header=BB6_1728 Depth=1
	s_mov_b64 s[16:17], 0
	s_mov_b64 s[2:3], s[14:15]
.LBB6_1771:                             ;   in Loop: Header=BB6_1728 Depth=1
	s_andn2_b64 vcc, exec, s[16:17]
	s_mov_b32 s18, 0
	s_cbranch_vccnz .LBB6_1773
; %bb.1772:                             ;   in Loop: Header=BB6_1728 Depth=1
	global_load_dwordx2 v[22:23], v35, s[14:15]
	s_add_i32 s18, s19, -8
.LBB6_1773:                             ;   in Loop: Header=BB6_1728 Depth=1
	s_add_u32 s14, s2, 8
	s_addc_u32 s15, s3, 0
	s_cmp_gt_u32 s18, 7
	s_cbranch_scc1 .LBB6_1777
; %bb.1774:                             ;   in Loop: Header=BB6_1728 Depth=1
	s_cmp_eq_u32 s18, 0
	s_cbranch_scc1 .LBB6_1778
; %bb.1775:                             ;   in Loop: Header=BB6_1728 Depth=1
	s_mov_b64 s[14:15], 0
	v_mov_b64_e32 v[24:25], 0
	s_mov_b64 s[16:17], 0
.LBB6_1776:                             ;   Parent Loop BB6_1728 Depth=1
                                        ; =>  This Inner Loop Header: Depth=2
	s_add_u32 s20, s2, s16
	s_addc_u32 s21, s3, s17
	global_load_ubyte v3, v35, s[20:21]
	s_add_u32 s16, s16, 1
	s_addc_u32 s17, s17, 0
	s_waitcnt vmcnt(0)
	v_and_b32_e32 v34, 0xffff, v3
	v_lshlrev_b64 v[12:13], s14, v[34:35]
	s_add_u32 s14, s14, 8
	s_addc_u32 s15, s15, 0
	v_or_b32_e32 v24, v12, v24
	s_cmp_lg_u32 s18, s16
	v_or_b32_e32 v25, v13, v25
	s_cbranch_scc1 .LBB6_1776
	s_branch .LBB6_1779
.LBB6_1777:                             ;   in Loop: Header=BB6_1728 Depth=1
	s_mov_b64 s[16:17], -1
                                        ; implicit-def: $vgpr24_vgpr25
	s_branch .LBB6_1780
.LBB6_1778:                             ;   in Loop: Header=BB6_1728 Depth=1
	v_mov_b64_e32 v[24:25], 0
.LBB6_1779:                             ;   in Loop: Header=BB6_1728 Depth=1
	s_mov_b64 s[16:17], 0
	s_mov_b64 s[14:15], s[2:3]
.LBB6_1780:                             ;   in Loop: Header=BB6_1728 Depth=1
	s_andn2_b64 vcc, exec, s[16:17]
	s_mov_b32 s19, 0
	s_cbranch_vccnz .LBB6_1782
; %bb.1781:                             ;   in Loop: Header=BB6_1728 Depth=1
	global_load_dwordx2 v[24:25], v35, s[2:3]
	s_add_i32 s19, s18, -8
.LBB6_1782:                             ;   in Loop: Header=BB6_1728 Depth=1
	s_cmp_gt_u32 s19, 7
	s_cbranch_scc1 .LBB6_1786
; %bb.1783:                             ;   in Loop: Header=BB6_1728 Depth=1
	s_cmp_eq_u32 s19, 0
	s_cbranch_scc1 .LBB6_1787
; %bb.1784:                             ;   in Loop: Header=BB6_1728 Depth=1
	s_mov_b64 s[2:3], 0
	v_mov_b64_e32 v[26:27], 0
	s_mov_b64 s[16:17], s[14:15]
.LBB6_1785:                             ;   Parent Loop BB6_1728 Depth=1
                                        ; =>  This Inner Loop Header: Depth=2
	global_load_ubyte v3, v35, s[16:17]
	s_add_i32 s19, s19, -1
	s_waitcnt vmcnt(0)
	v_and_b32_e32 v34, 0xffff, v3
	v_lshlrev_b64 v[12:13], s2, v[34:35]
	s_add_u32 s2, s2, 8
	s_addc_u32 s3, s3, 0
	s_add_u32 s16, s16, 1
	s_addc_u32 s17, s17, 0
	v_or_b32_e32 v26, v12, v26
	s_cmp_lg_u32 s19, 0
	v_or_b32_e32 v27, v13, v27
	s_cbranch_scc1 .LBB6_1785
	s_branch .LBB6_1788
.LBB6_1786:                             ;   in Loop: Header=BB6_1728 Depth=1
	s_mov_b64 s[2:3], -1
	s_branch .LBB6_1789
.LBB6_1787:                             ;   in Loop: Header=BB6_1728 Depth=1
	v_mov_b64_e32 v[26:27], 0
.LBB6_1788:                             ;   in Loop: Header=BB6_1728 Depth=1
	s_mov_b64 s[2:3], 0
.LBB6_1789:                             ;   in Loop: Header=BB6_1728 Depth=1
	s_andn2_b64 vcc, exec, s[2:3]
	s_cbranch_vccnz .LBB6_1791
; %bb.1790:                             ;   in Loop: Header=BB6_1728 Depth=1
	global_load_dwordx2 v[26:27], v35, s[14:15]
.LBB6_1791:                             ;   in Loop: Header=BB6_1728 Depth=1
	v_readfirstlane_b32 s2, v5
	v_mov_b64_e32 v[12:13], 0
	s_nop 0
	v_cmp_eq_u32_e64 s[2:3], s2, v5
	s_and_saveexec_b64 s[14:15], s[2:3]
	s_cbranch_execz .LBB6_1797
; %bb.1792:                             ;   in Loop: Header=BB6_1728 Depth=1
	global_load_dwordx2 v[30:31], v35, s[6:7] offset:24 sc0 sc1
	s_waitcnt vmcnt(0)
	buffer_inv sc0 sc1
	global_load_dwordx2 v[12:13], v35, s[6:7] offset:40
	global_load_dwordx2 v[28:29], v35, s[6:7]
	s_waitcnt vmcnt(1)
	v_and_b32_e32 v3, v12, v30
	v_and_b32_e32 v12, v13, v31
	v_mul_lo_u32 v12, v12, 24
	v_mul_hi_u32 v13, v3, 24
	v_add_u32_e32 v13, v13, v12
	v_mul_lo_u32 v12, v3, 24
	s_waitcnt vmcnt(0)
	v_lshl_add_u64 v[12:13], v[28:29], 0, v[12:13]
	global_load_dwordx2 v[28:29], v[12:13], off sc0 sc1
	s_waitcnt vmcnt(0)
	global_atomic_cmpswap_x2 v[12:13], v35, v[28:31], s[6:7] offset:24 sc0 sc1
	s_waitcnt vmcnt(0)
	buffer_inv sc0 sc1
	v_cmp_ne_u64_e32 vcc, v[12:13], v[30:31]
	s_and_saveexec_b64 s[16:17], vcc
	s_cbranch_execz .LBB6_1796
; %bb.1793:                             ;   in Loop: Header=BB6_1728 Depth=1
	s_mov_b64 s[18:19], 0
.LBB6_1794:                             ;   Parent Loop BB6_1728 Depth=1
                                        ; =>  This Inner Loop Header: Depth=2
	s_sleep 1
	global_load_dwordx2 v[28:29], v35, s[6:7] offset:40
	global_load_dwordx2 v[36:37], v35, s[6:7]
	v_mov_b64_e32 v[30:31], v[12:13]
	s_waitcnt vmcnt(1)
	v_and_b32_e32 v12, v28, v30
	s_waitcnt vmcnt(0)
	v_mad_u64_u32 v[12:13], s[20:21], v12, 24, v[36:37]
	v_and_b32_e32 v3, v29, v31
	v_mov_b32_e32 v28, v13
	v_mad_u64_u32 v[28:29], s[20:21], v3, 24, v[28:29]
	v_mov_b32_e32 v13, v28
	global_load_dwordx2 v[28:29], v[12:13], off sc0 sc1
	s_waitcnt vmcnt(0)
	global_atomic_cmpswap_x2 v[12:13], v35, v[28:31], s[6:7] offset:24 sc0 sc1
	s_waitcnt vmcnt(0)
	buffer_inv sc0 sc1
	v_cmp_eq_u64_e32 vcc, v[12:13], v[30:31]
	s_or_b64 s[18:19], vcc, s[18:19]
	s_andn2_b64 exec, exec, s[18:19]
	s_cbranch_execnz .LBB6_1794
; %bb.1795:                             ;   in Loop: Header=BB6_1728 Depth=1
	s_or_b64 exec, exec, s[18:19]
.LBB6_1796:                             ;   in Loop: Header=BB6_1728 Depth=1
	s_or_b64 exec, exec, s[16:17]
.LBB6_1797:                             ;   in Loop: Header=BB6_1728 Depth=1
	s_or_b64 exec, exec, s[14:15]
	global_load_dwordx2 v[36:37], v35, s[6:7] offset:40
	global_load_dwordx4 v[28:31], v35, s[6:7]
	v_readfirstlane_b32 s15, v13
	v_readfirstlane_b32 s14, v12
	s_mov_b64 s[16:17], exec
	s_waitcnt vmcnt(1)
	v_readfirstlane_b32 s18, v36
	v_readfirstlane_b32 s19, v37
	s_and_b64 s[18:19], s[18:19], s[14:15]
	s_mul_i32 s20, s19, 24
	s_mul_hi_u32 s21, s18, 24
	s_add_i32 s21, s21, s20
	s_mul_i32 s20, s18, 24
	s_waitcnt vmcnt(0)
	v_lshl_add_u64 v[36:37], v[28:29], 0, s[20:21]
	s_and_saveexec_b64 s[20:21], s[2:3]
	s_cbranch_execz .LBB6_1799
; %bb.1798:                             ;   in Loop: Header=BB6_1728 Depth=1
	v_mov_b64_e32 v[12:13], s[16:17]
	global_store_dwordx4 v[36:37], v[12:15], off offset:8
.LBB6_1799:                             ;   in Loop: Header=BB6_1728 Depth=1
	s_or_b64 exec, exec, s[20:21]
	s_lshl_b64 s[16:17], s[18:19], 12
	v_lshl_add_u64 v[12:13], v[30:31], 0, s[16:17]
	v_cmp_lt_u64_e64 vcc, s[10:11], 57
	s_lshl_b32 s16, s12, 2
	s_add_i32 s16, s16, 28
	v_cndmask_b32_e32 v3, 0, v2, vcc
	v_and_b32_e32 v8, 0xffffff1f, v8
	s_and_b32 s16, s16, 0x1e0
	v_or_b32_e32 v3, v8, v3
	v_or_b32_e32 v8, s16, v3
	v_readfirstlane_b32 s16, v12
	v_readfirstlane_b32 s17, v13
	s_nop 4
	global_store_dwordx4 v32, v[8:11], s[16:17]
	global_store_dwordx4 v32, v[16:19], s[16:17] offset:16
	global_store_dwordx4 v32, v[20:23], s[16:17] offset:32
	global_store_dwordx4 v32, v[24:27], s[16:17] offset:48
	s_and_saveexec_b64 s[16:17], s[2:3]
	s_cbranch_execz .LBB6_1807
; %bb.1800:                             ;   in Loop: Header=BB6_1728 Depth=1
	global_load_dwordx2 v[20:21], v35, s[6:7] offset:32 sc0 sc1
	global_load_dwordx2 v[8:9], v35, s[6:7] offset:40
	v_mov_b32_e32 v18, s14
	v_mov_b32_e32 v19, s15
	s_waitcnt vmcnt(0)
	v_readfirstlane_b32 s18, v8
	v_readfirstlane_b32 s19, v9
	s_and_b64 s[18:19], s[18:19], s[14:15]
	s_mul_i32 s19, s19, 24
	s_mul_hi_u32 s20, s18, 24
	s_mul_i32 s18, s18, 24
	s_add_i32 s19, s20, s19
	v_lshl_add_u64 v[16:17], v[28:29], 0, s[18:19]
	global_store_dwordx2 v[16:17], v[20:21], off
	buffer_wbl2 sc0 sc1
	s_waitcnt vmcnt(0)
	global_atomic_cmpswap_x2 v[10:11], v35, v[18:21], s[6:7] offset:32 sc0 sc1
	s_waitcnt vmcnt(0)
	v_cmp_ne_u64_e32 vcc, v[10:11], v[20:21]
	s_and_saveexec_b64 s[18:19], vcc
	s_cbranch_execz .LBB6_1803
; %bb.1801:                             ;   in Loop: Header=BB6_1728 Depth=1
	s_mov_b64 s[20:21], 0
.LBB6_1802:                             ;   Parent Loop BB6_1728 Depth=1
                                        ; =>  This Inner Loop Header: Depth=2
	s_sleep 1
	global_store_dwordx2 v[16:17], v[10:11], off
	v_mov_b32_e32 v8, s14
	v_mov_b32_e32 v9, s15
	buffer_wbl2 sc0 sc1
	s_waitcnt vmcnt(0)
	global_atomic_cmpswap_x2 v[8:9], v35, v[8:11], s[6:7] offset:32 sc0 sc1
	s_waitcnt vmcnt(0)
	v_cmp_eq_u64_e32 vcc, v[8:9], v[10:11]
	s_or_b64 s[20:21], vcc, s[20:21]
	v_mov_b64_e32 v[10:11], v[8:9]
	s_andn2_b64 exec, exec, s[20:21]
	s_cbranch_execnz .LBB6_1802
.LBB6_1803:                             ;   in Loop: Header=BB6_1728 Depth=1
	s_or_b64 exec, exec, s[18:19]
	global_load_dwordx2 v[8:9], v35, s[6:7] offset:16
	s_mov_b64 s[20:21], exec
	v_mbcnt_lo_u32_b32 v3, s20, 0
	v_mbcnt_hi_u32_b32 v3, s21, v3
	v_cmp_eq_u32_e32 vcc, 0, v3
	s_and_saveexec_b64 s[18:19], vcc
	s_cbranch_execz .LBB6_1805
; %bb.1804:                             ;   in Loop: Header=BB6_1728 Depth=1
	s_bcnt1_i32_b64 s20, s[20:21]
	v_mov_b32_e32 v34, s20
	buffer_wbl2 sc0 sc1
	s_waitcnt vmcnt(0)
	global_atomic_add_x2 v[8:9], v[34:35], off offset:8 sc1
.LBB6_1805:                             ;   in Loop: Header=BB6_1728 Depth=1
	s_or_b64 exec, exec, s[18:19]
	s_waitcnt vmcnt(0)
	global_load_dwordx2 v[10:11], v[8:9], off offset:16
	s_waitcnt vmcnt(0)
	v_cmp_eq_u64_e32 vcc, 0, v[10:11]
	s_cbranch_vccnz .LBB6_1807
; %bb.1806:                             ;   in Loop: Header=BB6_1728 Depth=1
	global_load_dword v34, v[8:9], off offset:24
	s_waitcnt vmcnt(0)
	v_readfirstlane_b32 s18, v34
	s_and_b32 m0, s18, 0xffffff
	buffer_wbl2 sc0 sc1
	global_store_dwordx2 v[10:11], v[34:35], off sc0 sc1
	s_sendmsg sendmsg(MSG_INTERRUPT)
.LBB6_1807:                             ;   in Loop: Header=BB6_1728 Depth=1
	s_or_b64 exec, exec, s[16:17]
	v_mov_b32_e32 v33, v35
	v_lshl_add_u64 v[8:9], v[12:13], 0, v[32:33]
	s_branch .LBB6_1811
.LBB6_1808:                             ;   in Loop: Header=BB6_1811 Depth=2
	s_or_b64 exec, exec, s[16:17]
	v_readfirstlane_b32 s16, v3
	s_cmp_eq_u32 s16, 0
	s_cbranch_scc1 .LBB6_1810
; %bb.1809:                             ;   in Loop: Header=BB6_1811 Depth=2
	s_sleep 1
	s_cbranch_execnz .LBB6_1811
	s_branch .LBB6_1813
.LBB6_1810:                             ;   in Loop: Header=BB6_1728 Depth=1
	s_branch .LBB6_1813
.LBB6_1811:                             ;   Parent Loop BB6_1728 Depth=1
                                        ; =>  This Inner Loop Header: Depth=2
	v_mov_b32_e32 v3, 1
	s_and_saveexec_b64 s[16:17], s[2:3]
	s_cbranch_execz .LBB6_1808
; %bb.1812:                             ;   in Loop: Header=BB6_1811 Depth=2
	global_load_dword v3, v[36:37], off offset:20 sc0 sc1
	s_waitcnt vmcnt(0)
	buffer_inv sc0 sc1
	v_and_b32_e32 v3, 1, v3
	s_branch .LBB6_1808
.LBB6_1813:                             ;   in Loop: Header=BB6_1728 Depth=1
	global_load_dwordx2 v[8:9], v[8:9], off
	s_and_saveexec_b64 s[16:17], s[2:3]
	s_cbranch_execz .LBB6_1727
; %bb.1814:                             ;   in Loop: Header=BB6_1728 Depth=1
	global_load_dwordx2 v[10:11], v35, s[6:7] offset:40
	global_load_dwordx2 v[20:21], v35, s[6:7] offset:24 sc0 sc1
	global_load_dwordx2 v[12:13], v35, s[6:7]
	s_waitcnt vmcnt(2)
	v_readfirstlane_b32 s18, v10
	v_readfirstlane_b32 s19, v11
	s_add_u32 s20, s18, 1
	s_addc_u32 s21, s19, 0
	s_add_u32 s2, s20, s14
	s_addc_u32 s3, s21, s15
	s_cmp_eq_u64 s[2:3], 0
	s_cselect_b32 s3, s21, s3
	s_cselect_b32 s2, s20, s2
	s_and_b64 s[14:15], s[2:3], s[18:19]
	s_mul_i32 s15, s15, 24
	s_mul_hi_u32 s18, s14, 24
	s_mul_i32 s14, s14, 24
	s_add_i32 s15, s18, s15
	s_waitcnt vmcnt(0)
	v_lshl_add_u64 v[16:17], v[12:13], 0, s[14:15]
	v_mov_b32_e32 v18, s2
	global_store_dwordx2 v[16:17], v[20:21], off
	v_mov_b32_e32 v19, s3
	buffer_wbl2 sc0 sc1
	s_waitcnt vmcnt(0)
	global_atomic_cmpswap_x2 v[12:13], v35, v[18:21], s[6:7] offset:24 sc0 sc1
	s_waitcnt vmcnt(0)
	v_cmp_ne_u64_e32 vcc, v[12:13], v[20:21]
	s_and_b64 exec, exec, vcc
	s_cbranch_execz .LBB6_1727
; %bb.1815:                             ;   in Loop: Header=BB6_1728 Depth=1
	s_mov_b64 s[14:15], 0
.LBB6_1816:                             ;   Parent Loop BB6_1728 Depth=1
                                        ; =>  This Inner Loop Header: Depth=2
	s_sleep 1
	global_store_dwordx2 v[16:17], v[12:13], off
	v_mov_b32_e32 v10, s2
	v_mov_b32_e32 v11, s3
	buffer_wbl2 sc0 sc1
	s_waitcnt vmcnt(0)
	global_atomic_cmpswap_x2 v[10:11], v35, v[10:13], s[6:7] offset:24 sc0 sc1
	s_waitcnt vmcnt(0)
	v_cmp_eq_u64_e32 vcc, v[10:11], v[12:13]
	s_or_b64 s[14:15], vcc, s[14:15]
	v_mov_b64_e32 v[12:13], v[10:11]
	s_andn2_b64 exec, exec, s[14:15]
	s_cbranch_execnz .LBB6_1816
	s_branch .LBB6_1727
.LBB6_1817:
	s_mov_b64 s[2:3], 0
	s_branch .LBB6_1819
.LBB6_1818:
	s_mov_b64 s[2:3], -1
                                        ; implicit-def: $vgpr8_vgpr9
.LBB6_1819:
	s_and_b64 vcc, exec, s[2:3]
	s_cbranch_vccz .LBB6_1846
; %bb.1820:
	v_readfirstlane_b32 s2, v5
	v_mov_b64_e32 v[2:3], 0
	s_nop 0
	v_cmp_eq_u32_e64 s[2:3], s2, v5
	s_and_saveexec_b64 s[8:9], s[2:3]
	s_cbranch_execz .LBB6_1826
; %bb.1821:
	s_waitcnt vmcnt(0)
	v_mov_b32_e32 v8, 0
	global_load_dwordx2 v[12:13], v8, s[6:7] offset:24 sc0 sc1
	s_waitcnt vmcnt(0)
	buffer_inv sc0 sc1
	global_load_dwordx2 v[2:3], v8, s[6:7] offset:40
	global_load_dwordx2 v[10:11], v8, s[6:7]
	s_waitcnt vmcnt(1)
	v_and_b32_e32 v2, v2, v12
	v_and_b32_e32 v3, v3, v13
	v_mul_lo_u32 v3, v3, 24
	v_mul_hi_u32 v9, v2, 24
	v_add_u32_e32 v3, v9, v3
	v_mul_lo_u32 v2, v2, 24
	s_waitcnt vmcnt(0)
	v_lshl_add_u64 v[2:3], v[10:11], 0, v[2:3]
	global_load_dwordx2 v[10:11], v[2:3], off sc0 sc1
	s_waitcnt vmcnt(0)
	global_atomic_cmpswap_x2 v[2:3], v8, v[10:13], s[6:7] offset:24 sc0 sc1
	s_waitcnt vmcnt(0)
	buffer_inv sc0 sc1
	v_cmp_ne_u64_e32 vcc, v[2:3], v[12:13]
	s_and_saveexec_b64 s[10:11], vcc
	s_cbranch_execz .LBB6_1825
; %bb.1822:
	s_mov_b64 s[12:13], 0
.LBB6_1823:                             ; =>This Inner Loop Header: Depth=1
	s_sleep 1
	global_load_dwordx2 v[10:11], v8, s[6:7] offset:40
	global_load_dwordx2 v[14:15], v8, s[6:7]
	v_mov_b64_e32 v[12:13], v[2:3]
	s_waitcnt vmcnt(1)
	v_and_b32_e32 v2, v10, v12
	s_waitcnt vmcnt(0)
	v_mad_u64_u32 v[2:3], s[14:15], v2, 24, v[14:15]
	v_and_b32_e32 v9, v11, v13
	v_mov_b32_e32 v10, v3
	v_mad_u64_u32 v[10:11], s[14:15], v9, 24, v[10:11]
	v_mov_b32_e32 v3, v10
	global_load_dwordx2 v[10:11], v[2:3], off sc0 sc1
	s_waitcnt vmcnt(0)
	global_atomic_cmpswap_x2 v[2:3], v8, v[10:13], s[6:7] offset:24 sc0 sc1
	s_waitcnt vmcnt(0)
	buffer_inv sc0 sc1
	v_cmp_eq_u64_e32 vcc, v[2:3], v[12:13]
	s_or_b64 s[12:13], vcc, s[12:13]
	s_andn2_b64 exec, exec, s[12:13]
	s_cbranch_execnz .LBB6_1823
; %bb.1824:
	s_or_b64 exec, exec, s[12:13]
.LBB6_1825:
	s_or_b64 exec, exec, s[10:11]
.LBB6_1826:
	s_or_b64 exec, exec, s[8:9]
	v_mov_b32_e32 v33, 0
	global_load_dwordx2 v[8:9], v33, s[6:7] offset:40
	global_load_dwordx4 v[10:13], v33, s[6:7]
	v_readfirstlane_b32 s9, v3
	v_readfirstlane_b32 s8, v2
	s_mov_b64 s[10:11], exec
	s_waitcnt vmcnt(1)
	v_readfirstlane_b32 s12, v8
	v_readfirstlane_b32 s13, v9
	s_and_b64 s[12:13], s[12:13], s[8:9]
	s_mul_i32 s14, s13, 24
	s_mul_hi_u32 s15, s12, 24
	s_add_i32 s15, s15, s14
	s_mul_i32 s14, s12, 24
	s_waitcnt vmcnt(0)
	v_lshl_add_u64 v[2:3], v[10:11], 0, s[14:15]
	s_and_saveexec_b64 s[14:15], s[2:3]
	s_cbranch_execz .LBB6_1828
; %bb.1827:
	v_mov_b64_e32 v[14:15], s[10:11]
	v_mov_b32_e32 v16, 2
	v_mov_b32_e32 v17, 1
	global_store_dwordx4 v[2:3], v[14:17], off offset:8
.LBB6_1828:
	s_or_b64 exec, exec, s[14:15]
	s_lshl_b64 s[10:11], s[12:13], 12
	v_lshl_add_u64 v[12:13], v[12:13], 0, s[10:11]
	s_movk_i32 s10, 0xff1f
	s_mov_b32 s12, 0
	v_and_or_b32 v6, v6, s10, 32
	v_mov_b32_e32 v8, v33
	v_mov_b32_e32 v9, v33
	v_readfirstlane_b32 s10, v12
	v_readfirstlane_b32 s11, v13
	s_mov_b32 s13, s12
	s_mov_b32 s14, s12
	s_mov_b32 s15, s12
	s_nop 1
	global_store_dwordx4 v32, v[6:9], s[10:11]
	s_nop 1
	v_mov_b64_e32 v[6:7], s[12:13]
	v_mov_b64_e32 v[8:9], s[14:15]
	global_store_dwordx4 v32, v[6:9], s[10:11] offset:16
	global_store_dwordx4 v32, v[6:9], s[10:11] offset:32
	;; [unrolled: 1-line block ×3, first 2 shown]
	s_and_saveexec_b64 s[10:11], s[2:3]
	s_cbranch_execz .LBB6_1836
; %bb.1829:
	v_mov_b32_e32 v14, 0
	global_load_dwordx2 v[18:19], v14, s[6:7] offset:32 sc0 sc1
	global_load_dwordx2 v[6:7], v14, s[6:7] offset:40
	v_mov_b32_e32 v16, s8
	v_mov_b32_e32 v17, s9
	s_waitcnt vmcnt(0)
	v_readfirstlane_b32 s12, v6
	v_readfirstlane_b32 s13, v7
	s_and_b64 s[12:13], s[12:13], s[8:9]
	s_mul_i32 s13, s13, 24
	s_mul_hi_u32 s14, s12, 24
	s_mul_i32 s12, s12, 24
	s_add_i32 s13, s14, s13
	v_lshl_add_u64 v[10:11], v[10:11], 0, s[12:13]
	global_store_dwordx2 v[10:11], v[18:19], off
	buffer_wbl2 sc0 sc1
	s_waitcnt vmcnt(0)
	global_atomic_cmpswap_x2 v[8:9], v14, v[16:19], s[6:7] offset:32 sc0 sc1
	s_waitcnt vmcnt(0)
	v_cmp_ne_u64_e32 vcc, v[8:9], v[18:19]
	s_and_saveexec_b64 s[12:13], vcc
	s_cbranch_execz .LBB6_1832
; %bb.1830:
	s_mov_b64 s[14:15], 0
.LBB6_1831:                             ; =>This Inner Loop Header: Depth=1
	s_sleep 1
	global_store_dwordx2 v[10:11], v[8:9], off
	v_mov_b32_e32 v6, s8
	v_mov_b32_e32 v7, s9
	buffer_wbl2 sc0 sc1
	s_waitcnt vmcnt(0)
	global_atomic_cmpswap_x2 v[6:7], v14, v[6:9], s[6:7] offset:32 sc0 sc1
	s_waitcnt vmcnt(0)
	v_cmp_eq_u64_e32 vcc, v[6:7], v[8:9]
	s_or_b64 s[14:15], vcc, s[14:15]
	v_mov_b64_e32 v[8:9], v[6:7]
	s_andn2_b64 exec, exec, s[14:15]
	s_cbranch_execnz .LBB6_1831
.LBB6_1832:
	s_or_b64 exec, exec, s[12:13]
	v_mov_b32_e32 v9, 0
	global_load_dwordx2 v[6:7], v9, s[6:7] offset:16
	s_mov_b64 s[12:13], exec
	v_mbcnt_lo_u32_b32 v8, s12, 0
	v_mbcnt_hi_u32_b32 v8, s13, v8
	v_cmp_eq_u32_e32 vcc, 0, v8
	s_and_saveexec_b64 s[14:15], vcc
	s_cbranch_execz .LBB6_1834
; %bb.1833:
	s_bcnt1_i32_b64 s12, s[12:13]
	v_mov_b32_e32 v8, s12
	buffer_wbl2 sc0 sc1
	s_waitcnt vmcnt(0)
	global_atomic_add_x2 v[6:7], v[8:9], off offset:8 sc1
.LBB6_1834:
	s_or_b64 exec, exec, s[14:15]
	s_waitcnt vmcnt(0)
	global_load_dwordx2 v[8:9], v[6:7], off offset:16
	s_waitcnt vmcnt(0)
	v_cmp_eq_u64_e32 vcc, 0, v[8:9]
	s_cbranch_vccnz .LBB6_1836
; %bb.1835:
	global_load_dword v6, v[6:7], off offset:24
	v_mov_b32_e32 v7, 0
	s_waitcnt vmcnt(0)
	v_readfirstlane_b32 s12, v6
	s_and_b32 m0, s12, 0xffffff
	buffer_wbl2 sc0 sc1
	global_store_dwordx2 v[8:9], v[6:7], off sc0 sc1
	s_sendmsg sendmsg(MSG_INTERRUPT)
.LBB6_1836:
	s_or_b64 exec, exec, s[10:11]
	v_lshl_add_u64 v[6:7], v[12:13], 0, v[32:33]
	s_branch .LBB6_1840
.LBB6_1837:                             ;   in Loop: Header=BB6_1840 Depth=1
	s_or_b64 exec, exec, s[10:11]
	v_readfirstlane_b32 s10, v8
	s_cmp_eq_u32 s10, 0
	s_cbranch_scc1 .LBB6_1839
; %bb.1838:                             ;   in Loop: Header=BB6_1840 Depth=1
	s_sleep 1
	s_cbranch_execnz .LBB6_1840
	s_branch .LBB6_1842
.LBB6_1839:
	s_branch .LBB6_1842
.LBB6_1840:                             ; =>This Inner Loop Header: Depth=1
	v_mov_b32_e32 v8, 1
	s_and_saveexec_b64 s[10:11], s[2:3]
	s_cbranch_execz .LBB6_1837
; %bb.1841:                             ;   in Loop: Header=BB6_1840 Depth=1
	global_load_dword v8, v[2:3], off offset:20 sc0 sc1
	s_waitcnt vmcnt(0)
	buffer_inv sc0 sc1
	v_and_b32_e32 v8, 1, v8
	s_branch .LBB6_1837
.LBB6_1842:
	global_load_dwordx2 v[8:9], v[6:7], off
	s_and_saveexec_b64 s[10:11], s[2:3]
	s_cbranch_execz .LBB6_1845
; %bb.1843:
	v_mov_b32_e32 v6, 0
	global_load_dwordx2 v[2:3], v6, s[6:7] offset:40
	global_load_dwordx2 v[14:15], v6, s[6:7] offset:24 sc0 sc1
	global_load_dwordx2 v[10:11], v6, s[6:7]
	s_waitcnt vmcnt(2)
	v_readfirstlane_b32 s12, v2
	v_readfirstlane_b32 s13, v3
	s_add_u32 s14, s12, 1
	s_addc_u32 s15, s13, 0
	s_add_u32 s2, s14, s8
	s_addc_u32 s3, s15, s9
	s_cmp_eq_u64 s[2:3], 0
	s_cselect_b32 s3, s15, s3
	s_cselect_b32 s2, s14, s2
	s_and_b64 s[8:9], s[2:3], s[12:13]
	s_mul_i32 s9, s9, 24
	s_mul_hi_u32 s12, s8, 24
	s_mul_i32 s8, s8, 24
	s_add_i32 s9, s12, s9
	s_waitcnt vmcnt(0)
	v_lshl_add_u64 v[2:3], v[10:11], 0, s[8:9]
	v_mov_b32_e32 v12, s2
	global_store_dwordx2 v[2:3], v[14:15], off
	v_mov_b32_e32 v13, s3
	buffer_wbl2 sc0 sc1
	s_waitcnt vmcnt(0)
	global_atomic_cmpswap_x2 v[12:13], v6, v[12:15], s[6:7] offset:24 sc0 sc1
	s_mov_b64 s[8:9], 0
	s_waitcnt vmcnt(0)
	v_cmp_ne_u64_e32 vcc, v[12:13], v[14:15]
	s_and_b64 exec, exec, vcc
	s_cbranch_execz .LBB6_1845
.LBB6_1844:                             ; =>This Inner Loop Header: Depth=1
	s_sleep 1
	global_store_dwordx2 v[2:3], v[12:13], off
	v_mov_b32_e32 v10, s2
	v_mov_b32_e32 v11, s3
	buffer_wbl2 sc0 sc1
	s_waitcnt vmcnt(0)
	global_atomic_cmpswap_x2 v[10:11], v6, v[10:13], s[6:7] offset:24 sc0 sc1
	s_waitcnt vmcnt(0)
	v_cmp_eq_u64_e32 vcc, v[10:11], v[12:13]
	s_or_b64 s[8:9], vcc, s[8:9]
	v_mov_b64_e32 v[12:13], v[10:11]
	s_andn2_b64 exec, exec, s[8:9]
	s_cbranch_execnz .LBB6_1844
.LBB6_1845:
	s_or_b64 exec, exec, s[10:11]
.LBB6_1846:
	v_readfirstlane_b32 s2, v5
	v_mov_b64_e32 v[2:3], 0
	s_nop 0
	v_cmp_eq_u32_e64 s[2:3], s2, v5
	s_and_saveexec_b64 s[8:9], s[2:3]
	s_cbranch_execz .LBB6_1852
; %bb.1847:
	s_waitcnt vmcnt(0)
	v_mov_b32_e32 v6, 0
	global_load_dwordx2 v[12:13], v6, s[6:7] offset:24 sc0 sc1
	s_waitcnt vmcnt(0)
	buffer_inv sc0 sc1
	global_load_dwordx2 v[2:3], v6, s[6:7] offset:40
	global_load_dwordx2 v[10:11], v6, s[6:7]
	s_waitcnt vmcnt(1)
	v_and_b32_e32 v2, v2, v12
	v_and_b32_e32 v3, v3, v13
	v_mul_lo_u32 v3, v3, 24
	v_mul_hi_u32 v7, v2, 24
	v_add_u32_e32 v3, v7, v3
	v_mul_lo_u32 v2, v2, 24
	s_waitcnt vmcnt(0)
	v_lshl_add_u64 v[2:3], v[10:11], 0, v[2:3]
	global_load_dwordx2 v[10:11], v[2:3], off sc0 sc1
	s_waitcnt vmcnt(0)
	global_atomic_cmpswap_x2 v[2:3], v6, v[10:13], s[6:7] offset:24 sc0 sc1
	s_waitcnt vmcnt(0)
	buffer_inv sc0 sc1
	v_cmp_ne_u64_e32 vcc, v[2:3], v[12:13]
	s_and_saveexec_b64 s[10:11], vcc
	s_cbranch_execz .LBB6_1851
; %bb.1848:
	s_mov_b64 s[12:13], 0
.LBB6_1849:                             ; =>This Inner Loop Header: Depth=1
	s_sleep 1
	global_load_dwordx2 v[10:11], v6, s[6:7] offset:40
	global_load_dwordx2 v[14:15], v6, s[6:7]
	v_mov_b64_e32 v[12:13], v[2:3]
	s_waitcnt vmcnt(1)
	v_and_b32_e32 v2, v10, v12
	s_waitcnt vmcnt(0)
	v_mad_u64_u32 v[2:3], s[14:15], v2, 24, v[14:15]
	v_and_b32_e32 v7, v11, v13
	v_mov_b32_e32 v10, v3
	v_mad_u64_u32 v[10:11], s[14:15], v7, 24, v[10:11]
	v_mov_b32_e32 v3, v10
	global_load_dwordx2 v[10:11], v[2:3], off sc0 sc1
	s_waitcnt vmcnt(0)
	global_atomic_cmpswap_x2 v[2:3], v6, v[10:13], s[6:7] offset:24 sc0 sc1
	s_waitcnt vmcnt(0)
	buffer_inv sc0 sc1
	v_cmp_eq_u64_e32 vcc, v[2:3], v[12:13]
	s_or_b64 s[12:13], vcc, s[12:13]
	s_andn2_b64 exec, exec, s[12:13]
	s_cbranch_execnz .LBB6_1849
; %bb.1850:
	s_or_b64 exec, exec, s[12:13]
.LBB6_1851:
	s_or_b64 exec, exec, s[10:11]
.LBB6_1852:
	s_or_b64 exec, exec, s[8:9]
	v_mov_b32_e32 v33, 0
	global_load_dwordx2 v[6:7], v33, s[6:7] offset:40
	global_load_dwordx4 v[12:15], v33, s[6:7]
	v_readfirstlane_b32 s9, v3
	v_readfirstlane_b32 s8, v2
	s_mov_b64 s[10:11], exec
	s_waitcnt vmcnt(1)
	v_readfirstlane_b32 s12, v6
	v_readfirstlane_b32 s13, v7
	s_and_b64 s[12:13], s[12:13], s[8:9]
	s_mul_i32 s14, s13, 24
	s_mul_hi_u32 s15, s12, 24
	s_add_i32 s15, s15, s14
	s_mul_i32 s14, s12, 24
	s_waitcnt vmcnt(0)
	v_lshl_add_u64 v[2:3], v[12:13], 0, s[14:15]
	s_and_saveexec_b64 s[14:15], s[2:3]
	s_cbranch_execz .LBB6_1854
; %bb.1853:
	v_mov_b64_e32 v[16:17], s[10:11]
	v_mov_b32_e32 v18, 2
	v_mov_b32_e32 v19, 1
	global_store_dwordx4 v[2:3], v[16:19], off offset:8
.LBB6_1854:
	s_or_b64 exec, exec, s[14:15]
	s_lshl_b64 s[10:11], s[12:13], 12
	v_lshl_add_u64 v[14:15], v[14:15], 0, s[10:11]
	s_movk_i32 s10, 0xff1f
	s_mov_b32 s12, 0
	v_and_or_b32 v8, v8, s10, 32
	v_mov_b32_e32 v10, v39
	v_mov_b32_e32 v11, v33
	v_readfirstlane_b32 s10, v14
	v_readfirstlane_b32 s11, v15
	s_mov_b32 s13, s12
	s_mov_b32 s14, s12
	;; [unrolled: 1-line block ×3, first 2 shown]
	s_nop 1
	global_store_dwordx4 v32, v[8:11], s[10:11]
	v_mov_b64_e32 v[6:7], s[12:13]
	s_nop 0
	v_mov_b64_e32 v[8:9], s[14:15]
	global_store_dwordx4 v32, v[6:9], s[10:11] offset:16
	global_store_dwordx4 v32, v[6:9], s[10:11] offset:32
	;; [unrolled: 1-line block ×3, first 2 shown]
	s_and_saveexec_b64 s[10:11], s[2:3]
	s_cbranch_execz .LBB6_1862
; %bb.1855:
	v_mov_b32_e32 v16, 0
	global_load_dwordx2 v[20:21], v16, s[6:7] offset:32 sc0 sc1
	global_load_dwordx2 v[6:7], v16, s[6:7] offset:40
	v_mov_b32_e32 v18, s8
	v_mov_b32_e32 v19, s9
	s_waitcnt vmcnt(0)
	v_readfirstlane_b32 s12, v6
	v_readfirstlane_b32 s13, v7
	s_and_b64 s[12:13], s[12:13], s[8:9]
	s_mul_i32 s13, s13, 24
	s_mul_hi_u32 s14, s12, 24
	s_mul_i32 s12, s12, 24
	s_add_i32 s13, s14, s13
	v_lshl_add_u64 v[10:11], v[12:13], 0, s[12:13]
	global_store_dwordx2 v[10:11], v[20:21], off
	buffer_wbl2 sc0 sc1
	s_waitcnt vmcnt(0)
	global_atomic_cmpswap_x2 v[8:9], v16, v[18:21], s[6:7] offset:32 sc0 sc1
	s_waitcnt vmcnt(0)
	v_cmp_ne_u64_e32 vcc, v[8:9], v[20:21]
	s_and_saveexec_b64 s[12:13], vcc
	s_cbranch_execz .LBB6_1858
; %bb.1856:
	s_mov_b64 s[14:15], 0
.LBB6_1857:                             ; =>This Inner Loop Header: Depth=1
	s_sleep 1
	global_store_dwordx2 v[10:11], v[8:9], off
	v_mov_b32_e32 v6, s8
	v_mov_b32_e32 v7, s9
	buffer_wbl2 sc0 sc1
	s_waitcnt vmcnt(0)
	global_atomic_cmpswap_x2 v[6:7], v16, v[6:9], s[6:7] offset:32 sc0 sc1
	s_waitcnt vmcnt(0)
	v_cmp_eq_u64_e32 vcc, v[6:7], v[8:9]
	s_or_b64 s[14:15], vcc, s[14:15]
	v_mov_b64_e32 v[8:9], v[6:7]
	s_andn2_b64 exec, exec, s[14:15]
	s_cbranch_execnz .LBB6_1857
.LBB6_1858:
	s_or_b64 exec, exec, s[12:13]
	v_mov_b32_e32 v9, 0
	global_load_dwordx2 v[6:7], v9, s[6:7] offset:16
	s_mov_b64 s[12:13], exec
	v_mbcnt_lo_u32_b32 v8, s12, 0
	v_mbcnt_hi_u32_b32 v8, s13, v8
	v_cmp_eq_u32_e32 vcc, 0, v8
	s_and_saveexec_b64 s[14:15], vcc
	s_cbranch_execz .LBB6_1860
; %bb.1859:
	s_bcnt1_i32_b64 s12, s[12:13]
	v_mov_b32_e32 v8, s12
	buffer_wbl2 sc0 sc1
	s_waitcnt vmcnt(0)
	global_atomic_add_x2 v[6:7], v[8:9], off offset:8 sc1
.LBB6_1860:
	s_or_b64 exec, exec, s[14:15]
	s_waitcnt vmcnt(0)
	global_load_dwordx2 v[8:9], v[6:7], off offset:16
	s_waitcnt vmcnt(0)
	v_cmp_eq_u64_e32 vcc, 0, v[8:9]
	s_cbranch_vccnz .LBB6_1862
; %bb.1861:
	global_load_dword v6, v[6:7], off offset:24
	v_mov_b32_e32 v7, 0
	s_waitcnt vmcnt(0)
	v_readfirstlane_b32 s12, v6
	s_and_b32 m0, s12, 0xffffff
	buffer_wbl2 sc0 sc1
	global_store_dwordx2 v[8:9], v[6:7], off sc0 sc1
	s_sendmsg sendmsg(MSG_INTERRUPT)
.LBB6_1862:
	s_or_b64 exec, exec, s[10:11]
	v_lshl_add_u64 v[6:7], v[14:15], 0, v[32:33]
	s_branch .LBB6_1866
.LBB6_1863:                             ;   in Loop: Header=BB6_1866 Depth=1
	s_or_b64 exec, exec, s[10:11]
	v_readfirstlane_b32 s10, v8
	s_cmp_eq_u32 s10, 0
	s_cbranch_scc1 .LBB6_1865
; %bb.1864:                             ;   in Loop: Header=BB6_1866 Depth=1
	s_sleep 1
	s_cbranch_execnz .LBB6_1866
	s_branch .LBB6_1868
.LBB6_1865:
	s_branch .LBB6_1868
.LBB6_1866:                             ; =>This Inner Loop Header: Depth=1
	v_mov_b32_e32 v8, 1
	s_and_saveexec_b64 s[10:11], s[2:3]
	s_cbranch_execz .LBB6_1863
; %bb.1867:                             ;   in Loop: Header=BB6_1866 Depth=1
	global_load_dword v8, v[2:3], off offset:20 sc0 sc1
	s_waitcnt vmcnt(0)
	buffer_inv sc0 sc1
	v_and_b32_e32 v8, 1, v8
	s_branch .LBB6_1863
.LBB6_1868:
	global_load_dwordx2 v[2:3], v[6:7], off
	s_and_saveexec_b64 s[10:11], s[2:3]
	s_cbranch_execz .LBB6_1871
; %bb.1869:
	v_mov_b32_e32 v12, 0
	global_load_dwordx2 v[6:7], v12, s[6:7] offset:40
	global_load_dwordx2 v[16:17], v12, s[6:7] offset:24 sc0 sc1
	global_load_dwordx2 v[8:9], v12, s[6:7]
	s_waitcnt vmcnt(2)
	v_readfirstlane_b32 s12, v6
	v_readfirstlane_b32 s13, v7
	s_add_u32 s14, s12, 1
	s_addc_u32 s15, s13, 0
	s_add_u32 s2, s14, s8
	s_addc_u32 s3, s15, s9
	s_cmp_eq_u64 s[2:3], 0
	s_cselect_b32 s3, s15, s3
	s_cselect_b32 s2, s14, s2
	s_and_b64 s[8:9], s[2:3], s[12:13]
	s_mul_i32 s9, s9, 24
	s_mul_hi_u32 s12, s8, 24
	s_mul_i32 s8, s8, 24
	s_add_i32 s9, s12, s9
	s_waitcnt vmcnt(0)
	v_lshl_add_u64 v[10:11], v[8:9], 0, s[8:9]
	v_mov_b32_e32 v14, s2
	global_store_dwordx2 v[10:11], v[16:17], off
	v_mov_b32_e32 v15, s3
	buffer_wbl2 sc0 sc1
	s_waitcnt vmcnt(0)
	global_atomic_cmpswap_x2 v[8:9], v12, v[14:17], s[6:7] offset:24 sc0 sc1
	s_mov_b64 s[8:9], 0
	s_waitcnt vmcnt(0)
	v_cmp_ne_u64_e32 vcc, v[8:9], v[16:17]
	s_and_b64 exec, exec, vcc
	s_cbranch_execz .LBB6_1871
.LBB6_1870:                             ; =>This Inner Loop Header: Depth=1
	s_sleep 1
	global_store_dwordx2 v[10:11], v[8:9], off
	v_mov_b32_e32 v6, s2
	v_mov_b32_e32 v7, s3
	buffer_wbl2 sc0 sc1
	s_waitcnt vmcnt(0)
	global_atomic_cmpswap_x2 v[6:7], v12, v[6:9], s[6:7] offset:24 sc0 sc1
	s_waitcnt vmcnt(0)
	v_cmp_eq_u64_e32 vcc, v[6:7], v[8:9]
	s_or_b64 s[8:9], vcc, s[8:9]
	v_mov_b64_e32 v[8:9], v[6:7]
	s_andn2_b64 exec, exec, s[8:9]
	s_cbranch_execnz .LBB6_1870
.LBB6_1871:
	s_or_b64 exec, exec, s[10:11]
	v_readfirstlane_b32 s2, v5
	v_mov_b64_e32 v[10:11], 0
	s_nop 0
	v_cmp_eq_u32_e64 s[2:3], s2, v5
	s_and_saveexec_b64 s[8:9], s[2:3]
	s_cbranch_execz .LBB6_1877
; %bb.1872:
	v_mov_b32_e32 v5, 0
	global_load_dwordx2 v[8:9], v5, s[6:7] offset:24 sc0 sc1
	s_waitcnt vmcnt(0)
	buffer_inv sc0 sc1
	global_load_dwordx2 v[6:7], v5, s[6:7] offset:40
	global_load_dwordx2 v[10:11], v5, s[6:7]
	s_waitcnt vmcnt(1)
	v_and_b32_e32 v6, v6, v8
	v_and_b32_e32 v7, v7, v9
	v_mul_lo_u32 v7, v7, 24
	v_mul_hi_u32 v12, v6, 24
	v_add_u32_e32 v7, v12, v7
	v_mul_lo_u32 v6, v6, 24
	s_waitcnt vmcnt(0)
	v_lshl_add_u64 v[6:7], v[10:11], 0, v[6:7]
	global_load_dwordx2 v[6:7], v[6:7], off sc0 sc1
	s_waitcnt vmcnt(0)
	global_atomic_cmpswap_x2 v[10:11], v5, v[6:9], s[6:7] offset:24 sc0 sc1
	s_waitcnt vmcnt(0)
	buffer_inv sc0 sc1
	v_cmp_ne_u64_e32 vcc, v[10:11], v[8:9]
	s_and_saveexec_b64 s[10:11], vcc
	s_cbranch_execz .LBB6_1876
; %bb.1873:
	s_mov_b64 s[12:13], 0
.LBB6_1874:                             ; =>This Inner Loop Header: Depth=1
	s_sleep 1
	global_load_dwordx2 v[6:7], v5, s[6:7] offset:40
	global_load_dwordx2 v[12:13], v5, s[6:7]
	v_mov_b64_e32 v[8:9], v[10:11]
	s_waitcnt vmcnt(1)
	v_and_b32_e32 v6, v6, v8
	v_and_b32_e32 v11, v7, v9
	s_waitcnt vmcnt(0)
	v_mad_u64_u32 v[6:7], s[14:15], v6, 24, v[12:13]
	v_mov_b32_e32 v10, v7
	v_mad_u64_u32 v[10:11], s[14:15], v11, 24, v[10:11]
	v_mov_b32_e32 v7, v10
	global_load_dwordx2 v[6:7], v[6:7], off sc0 sc1
	s_waitcnt vmcnt(0)
	global_atomic_cmpswap_x2 v[10:11], v5, v[6:9], s[6:7] offset:24 sc0 sc1
	s_waitcnt vmcnt(0)
	buffer_inv sc0 sc1
	v_cmp_eq_u64_e32 vcc, v[10:11], v[8:9]
	s_or_b64 s[12:13], vcc, s[12:13]
	s_andn2_b64 exec, exec, s[12:13]
	s_cbranch_execnz .LBB6_1874
; %bb.1875:
	s_or_b64 exec, exec, s[12:13]
.LBB6_1876:
	s_or_b64 exec, exec, s[10:11]
.LBB6_1877:
	s_or_b64 exec, exec, s[8:9]
	v_mov_b32_e32 v5, 0
	global_load_dwordx2 v[12:13], v5, s[6:7] offset:40
	global_load_dwordx4 v[6:9], v5, s[6:7]
	v_readfirstlane_b32 s9, v11
	v_readfirstlane_b32 s8, v10
	s_mov_b64 s[10:11], exec
	s_waitcnt vmcnt(1)
	v_readfirstlane_b32 s12, v12
	v_readfirstlane_b32 s13, v13
	s_and_b64 s[12:13], s[12:13], s[8:9]
	s_mul_i32 s14, s13, 24
	s_mul_hi_u32 s15, s12, 24
	s_add_i32 s15, s15, s14
	s_mul_i32 s14, s12, 24
	s_waitcnt vmcnt(0)
	v_lshl_add_u64 v[10:11], v[6:7], 0, s[14:15]
	s_and_saveexec_b64 s[14:15], s[2:3]
	s_cbranch_execz .LBB6_1879
; %bb.1878:
	v_mov_b64_e32 v[12:13], s[10:11]
	v_mov_b32_e32 v14, 2
	v_mov_b32_e32 v15, 1
	global_store_dwordx4 v[10:11], v[12:15], off offset:8
.LBB6_1879:
	s_or_b64 exec, exec, s[14:15]
	s_lshl_b64 s[10:11], s[12:13], 12
	v_lshl_add_u64 v[8:9], v[8:9], 0, s[10:11]
	s_movk_i32 s10, 0xff1d
	s_mov_b32 s12, 0
	v_and_or_b32 v2, v2, s10, 34
	v_readfirstlane_b32 s10, v8
	v_readfirstlane_b32 s11, v9
	s_mov_b32 s13, s12
	s_mov_b32 s14, s12
	;; [unrolled: 1-line block ×3, first 2 shown]
	s_nop 1
	global_store_dwordx4 v32, v[2:5], s[10:11]
	s_nop 1
	v_mov_b64_e32 v[2:3], s[12:13]
	v_mov_b64_e32 v[4:5], s[14:15]
	global_store_dwordx4 v32, v[2:5], s[10:11] offset:16
	global_store_dwordx4 v32, v[2:5], s[10:11] offset:32
	;; [unrolled: 1-line block ×3, first 2 shown]
	s_and_saveexec_b64 s[10:11], s[2:3]
	s_cbranch_execz .LBB6_1887
; %bb.1880:
	v_mov_b32_e32 v8, 0
	global_load_dwordx2 v[14:15], v8, s[6:7] offset:32 sc0 sc1
	global_load_dwordx2 v[2:3], v8, s[6:7] offset:40
	v_mov_b32_e32 v12, s8
	v_mov_b32_e32 v13, s9
	s_waitcnt vmcnt(0)
	v_readfirstlane_b32 s12, v2
	v_readfirstlane_b32 s13, v3
	s_and_b64 s[12:13], s[12:13], s[8:9]
	s_mul_i32 s13, s13, 24
	s_mul_hi_u32 s14, s12, 24
	s_mul_i32 s12, s12, 24
	s_add_i32 s13, s14, s13
	v_lshl_add_u64 v[6:7], v[6:7], 0, s[12:13]
	global_store_dwordx2 v[6:7], v[14:15], off
	buffer_wbl2 sc0 sc1
	s_waitcnt vmcnt(0)
	global_atomic_cmpswap_x2 v[4:5], v8, v[12:15], s[6:7] offset:32 sc0 sc1
	s_waitcnt vmcnt(0)
	v_cmp_ne_u64_e32 vcc, v[4:5], v[14:15]
	s_and_saveexec_b64 s[12:13], vcc
	s_cbranch_execz .LBB6_1883
; %bb.1881:
	s_mov_b64 s[14:15], 0
.LBB6_1882:                             ; =>This Inner Loop Header: Depth=1
	s_sleep 1
	global_store_dwordx2 v[6:7], v[4:5], off
	v_mov_b32_e32 v2, s8
	v_mov_b32_e32 v3, s9
	buffer_wbl2 sc0 sc1
	s_waitcnt vmcnt(0)
	global_atomic_cmpswap_x2 v[2:3], v8, v[2:5], s[6:7] offset:32 sc0 sc1
	s_waitcnt vmcnt(0)
	v_cmp_eq_u64_e32 vcc, v[2:3], v[4:5]
	s_or_b64 s[14:15], vcc, s[14:15]
	v_mov_b64_e32 v[4:5], v[2:3]
	s_andn2_b64 exec, exec, s[14:15]
	s_cbranch_execnz .LBB6_1882
.LBB6_1883:
	s_or_b64 exec, exec, s[12:13]
	v_mov_b32_e32 v5, 0
	global_load_dwordx2 v[2:3], v5, s[6:7] offset:16
	s_mov_b64 s[12:13], exec
	v_mbcnt_lo_u32_b32 v4, s12, 0
	v_mbcnt_hi_u32_b32 v4, s13, v4
	v_cmp_eq_u32_e32 vcc, 0, v4
	s_and_saveexec_b64 s[14:15], vcc
	s_cbranch_execz .LBB6_1885
; %bb.1884:
	s_bcnt1_i32_b64 s12, s[12:13]
	v_mov_b32_e32 v4, s12
	buffer_wbl2 sc0 sc1
	s_waitcnt vmcnt(0)
	global_atomic_add_x2 v[2:3], v[4:5], off offset:8 sc1
.LBB6_1885:
	s_or_b64 exec, exec, s[14:15]
	s_waitcnt vmcnt(0)
	global_load_dwordx2 v[4:5], v[2:3], off offset:16
	s_waitcnt vmcnt(0)
	v_cmp_eq_u64_e32 vcc, 0, v[4:5]
	s_cbranch_vccnz .LBB6_1887
; %bb.1886:
	global_load_dword v2, v[2:3], off offset:24
	v_mov_b32_e32 v3, 0
	s_waitcnt vmcnt(0)
	v_readfirstlane_b32 s12, v2
	s_and_b32 m0, s12, 0xffffff
	buffer_wbl2 sc0 sc1
	global_store_dwordx2 v[4:5], v[2:3], off sc0 sc1
	s_sendmsg sendmsg(MSG_INTERRUPT)
.LBB6_1887:
	s_or_b64 exec, exec, s[10:11]
	s_branch .LBB6_1891
.LBB6_1888:                             ;   in Loop: Header=BB6_1891 Depth=1
	s_or_b64 exec, exec, s[10:11]
	v_readfirstlane_b32 s10, v2
	s_cmp_eq_u32 s10, 0
	s_cbranch_scc1 .LBB6_1890
; %bb.1889:                             ;   in Loop: Header=BB6_1891 Depth=1
	s_sleep 1
	s_cbranch_execnz .LBB6_1891
	s_branch .LBB6_1893
.LBB6_1890:
	s_branch .LBB6_1893
.LBB6_1891:                             ; =>This Inner Loop Header: Depth=1
	v_mov_b32_e32 v2, 1
	s_and_saveexec_b64 s[10:11], s[2:3]
	s_cbranch_execz .LBB6_1888
; %bb.1892:                             ;   in Loop: Header=BB6_1891 Depth=1
	global_load_dword v2, v[10:11], off offset:20 sc0 sc1
	s_waitcnt vmcnt(0)
	buffer_inv sc0 sc1
	v_and_b32_e32 v2, 1, v2
	s_branch .LBB6_1888
.LBB6_1893:
	s_and_b64 exec, exec, s[2:3]
	s_cbranch_execz .LBB6_1896
; %bb.1894:
	v_mov_b32_e32 v8, 0
	global_load_dwordx2 v[2:3], v8, s[6:7] offset:40
	global_load_dwordx2 v[12:13], v8, s[6:7] offset:24 sc0 sc1
	global_load_dwordx2 v[4:5], v8, s[6:7]
	s_waitcnt vmcnt(2)
	v_readfirstlane_b32 s10, v2
	v_readfirstlane_b32 s11, v3
	s_add_u32 s12, s10, 1
	s_addc_u32 s13, s11, 0
	s_add_u32 s2, s12, s8
	s_addc_u32 s3, s13, s9
	s_cmp_eq_u64 s[2:3], 0
	s_cselect_b32 s3, s13, s3
	s_cselect_b32 s2, s12, s2
	s_and_b64 s[8:9], s[2:3], s[10:11]
	s_mul_i32 s9, s9, 24
	s_mul_hi_u32 s10, s8, 24
	s_mul_i32 s8, s8, 24
	s_add_i32 s9, s10, s9
	s_waitcnt vmcnt(0)
	v_lshl_add_u64 v[6:7], v[4:5], 0, s[8:9]
	v_mov_b32_e32 v10, s2
	global_store_dwordx2 v[6:7], v[12:13], off
	v_mov_b32_e32 v11, s3
	buffer_wbl2 sc0 sc1
	s_waitcnt vmcnt(0)
	global_atomic_cmpswap_x2 v[4:5], v8, v[10:13], s[6:7] offset:24 sc0 sc1
	s_mov_b64 s[8:9], 0
	s_waitcnt vmcnt(0)
	v_cmp_ne_u64_e32 vcc, v[4:5], v[12:13]
	s_and_b64 exec, exec, vcc
	s_cbranch_execz .LBB6_1896
.LBB6_1895:                             ; =>This Inner Loop Header: Depth=1
	s_sleep 1
	global_store_dwordx2 v[6:7], v[4:5], off
	v_mov_b32_e32 v2, s2
	v_mov_b32_e32 v3, s3
	buffer_wbl2 sc0 sc1
	s_waitcnt vmcnt(0)
	global_atomic_cmpswap_x2 v[2:3], v8, v[2:5], s[6:7] offset:24 sc0 sc1
	s_waitcnt vmcnt(0)
	v_cmp_eq_u64_e32 vcc, v[2:3], v[4:5]
	s_or_b64 s[8:9], vcc, s[8:9]
	v_mov_b64_e32 v[4:5], v[2:3]
	s_andn2_b64 exec, exec, s[8:9]
	s_cbranch_execnz .LBB6_1895
.LBB6_1896:
	s_or_b64 exec, exec, s[4:5]
	v_or_b32_e32 v0, v0, v41
	v_cmp_lt_i32_e32 vcc, -1, v0
	s_xor_b64 s[0:1], s[0:1], -1
	s_and_b64 s[0:1], vcc, s[0:1]
	s_mov_b64 s[26:27], 0
                                        ; implicit-def: $vgpr41
	s_and_saveexec_b64 s[2:3], s[0:1]
	s_xor_b64 s[0:1], exec, s[2:3]
	s_cbranch_execz .LBB6_1898
; %bb.1897:
	flat_load_dword v2, v[42:43]
	v_lshl_or_b32 v0, v38, 1, 1
	s_mov_b64 s[26:27], exec
	s_waitcnt vmcnt(0) lgkmcnt(0)
	v_ashrrev_i32_e32 v3, 31, v2
	v_add_u32_e32 v4, 1, v2
	flat_store_dword v[42:43], v4
	v_lshl_add_u64 v[4:5], v[2:3], 3, v[42:43]
	flat_store_dwordx2 v[4:5], v[0:1] offset:8
	v_lshl_or_b32 v41, v2, 1, 1
.LBB6_1898:
	s_or_saveexec_b64 s[28:29], s[0:1]
	s_mov_b64 s[0:1], s[22:23]
	s_xor_b64 exec, exec, s[28:29]
	s_cbranch_execz .LBB6_1900
; %bb.1899:
	s_getpc_b64 s[0:1]
	s_add_u32 s0, s0, .str.46@rel32@lo+4
	s_addc_u32 s1, s1, .str.46@rel32@hi+12
	s_getpc_b64 s[2:3]
	s_add_u32 s2, s2, .str.44@rel32@lo+4
	s_addc_u32 s3, s3, .str.44@rel32@hi+12
	s_getpc_b64 s[4:5]
	s_add_u32 s4, s4, __PRETTY_FUNCTION__._ZN8subgUtil18formAndNodeKeyFlagEiii@rel32@lo+4
	s_addc_u32 s5, s5, __PRETTY_FUNCTION__._ZN8subgUtil18formAndNodeKeyFlagEiii@rel32@hi+12
	s_getpc_b64 s[6:7]
	s_add_u32 s6, s6, __assert_fail@rel32@lo+4
	s_addc_u32 s7, s7, __assert_fail@rel32@hi+12
	s_mov_b64 s[8:9], s[64:65]
	v_mov_b32_e32 v0, s0
	v_mov_b32_e32 v1, s1
	;; [unrolled: 1-line block ×7, first 2 shown]
	s_swappc_b64 s[30:31], s[6:7]
	s_or_b64 s[0:1], s[22:23], exec
.LBB6_1900:
	s_or_b64 exec, exec, s[28:29]
	s_andn2_b64 s[2:3], s[22:23], exec
	s_and_b64 s[0:1], s[0:1], exec
	s_or_b64 s[22:23], s[2:3], s[0:1]
	s_and_b64 s[0:1], s[26:27], exec
.LBB6_1901:
	s_or_b64 exec, exec, s[24:25]
	s_andn2_b64 s[2:3], s[34:35], exec
	s_and_b64 s[4:5], s[22:23], exec
	s_or_b64 s[2:3], s[2:3], s[4:5]
	s_orn2_b64 s[0:1], s[0:1], exec
.LBB6_1902:
	s_or_b64 exec, exec, s[48:49]
	s_andn2_b64 s[4:5], s[34:35], exec
	s_and_b64 s[2:3], s[2:3], exec
	s_or_b64 s[24:25], s[4:5], s[2:3]
	v_readlane_b32 s2, v47, 20
	v_readlane_b32 s3, v47, 21
	s_andn2_b64 s[2:3], s[2:3], exec
	s_and_b64 s[0:1], s[0:1], exec
	s_or_b64 s[22:23], s[2:3], s[0:1]
.LBB6_1903:
	s_andn2_saveexec_b64 s[26:27], s[38:39]
	s_cbranch_execz .LBB6_1905
; %bb.1904:
	s_getpc_b64 s[0:1]
	s_add_u32 s0, s0, .str.46@rel32@lo+4
	s_addc_u32 s1, s1, .str.46@rel32@hi+12
	s_getpc_b64 s[2:3]
	s_add_u32 s2, s2, .str.44@rel32@lo+4
	s_addc_u32 s3, s3, .str.44@rel32@hi+12
	s_getpc_b64 s[4:5]
	s_add_u32 s4, s4, __PRETTY_FUNCTION__._ZN8subgUtil18formAndNodeKeyFlagEiii@rel32@lo+4
	s_addc_u32 s5, s5, __PRETTY_FUNCTION__._ZN8subgUtil18formAndNodeKeyFlagEiii@rel32@hi+12
	s_getpc_b64 s[6:7]
	s_add_u32 s6, s6, __assert_fail@rel32@lo+4
	s_addc_u32 s7, s7, __assert_fail@rel32@hi+12
	s_mov_b64 s[8:9], s[64:65]
	v_mov_b32_e32 v0, s0
	v_mov_b32_e32 v1, s1
	;; [unrolled: 1-line block ×7, first 2 shown]
	s_swappc_b64 s[30:31], s[6:7]
	s_or_b64 s[24:25], s[24:25], exec
.LBB6_1905:
	s_or_b64 exec, exec, s[26:27]
	v_readlane_b32 s38, v47, 20
	s_andn2_b64 s[0:1], s[34:35], exec
	s_and_b64 s[2:3], s[24:25], exec
	v_readlane_b32 s39, v47, 21
	s_or_b64 s[0:1], s[0:1], s[2:3]
	s_andn2_b64 s[2:3], s[38:39], exec
	s_and_b64 s[4:5], s[22:23], exec
	v_readlane_b32 s34, v47, 16
	s_or_b64 s[2:3], s[2:3], s[4:5]
	v_readlane_b32 s35, v47, 17
.LBB6_1906:
	s_or_b64 exec, exec, s[36:37]
	s_andn2_b64 s[4:5], s[34:35], exec
	s_and_b64 s[0:1], s[0:1], exec
	s_or_b64 s[34:35], s[4:5], s[0:1]
	s_andn2_b64 s[0:1], s[38:39], exec
	s_and_b64 s[2:3], s[2:3], exec
	s_or_b64 s[38:39], s[0:1], s[2:3]
	v_readlane_b32 s40, v47, 24
	v_readlane_b32 s42, v47, 22
	;; [unrolled: 1-line block ×17, first 2 shown]
	s_mov_b64 s[62:63], s[54:55]
	s_mov_b64 s[28:29], s[84:85]
	v_readlane_b32 s41, v47, 25
	v_readlane_b32 s43, v47, 23
	s_mov_b64 s[24:25], s[86:87]
	v_readlane_b32 s57, v47, 19
	s_mov_b64 s[58:59], s[96:97]
	v_readlane_b32 s27, v47, 15
	v_readlane_b32 s61, v47, 13
	s_mov_b64 s[72:73], 0
	v_readlane_b32 s75, v47, 29
	v_readlane_b32 s77, v47, 9
	;; [unrolled: 1-line block ×12, first 2 shown]
.LBB6_1907:
	s_or_b64 exec, exec, s[0:1]
	s_andn2_b64 s[0:1], s[2:3], exec
	s_and_b64 s[2:3], s[34:35], exec
	s_or_b64 s[2:3], s[0:1], s[2:3]
	s_and_b64 s[0:1], s[38:39], exec
.LBB6_1908:
	s_or_b64 exec, exec, s[4:5]
	s_andn2_b64 s[4:5], s[46:47], exec
	s_and_b64 s[2:3], s[2:3], exec
	s_or_b64 s[46:47], s[4:5], s[2:3]
	s_and_b64 s[0:1], s[0:1], exec
.LBB6_1909:
	s_or_b64 exec, exec, s[92:93]
	s_andn2_b64 s[2:3], s[44:45], exec
	s_and_b64 s[4:5], s[46:47], exec
	s_or_b64 s[44:45], s[2:3], s[4:5]
	s_and_b64 s[2:3], s[0:1], exec
.LBB6_1910:
	s_or_b64 exec, exec, s[90:91]
	s_andn2_b64 s[0:1], s[22:23], exec
	s_and_b64 s[4:5], s[44:45], exec
	s_or_b64 s[46:47], s[0:1], s[4:5]
	s_and_b64 s[44:45], s[2:3], exec
.LBB6_1911:
	s_andn2_saveexec_b64 s[88:89], s[88:89]
	s_cbranch_execz .LBB6_1913
; %bb.1912:
	s_getpc_b64 s[0:1]
	s_add_u32 s0, s0, .str.39@rel32@lo+4
	s_addc_u32 s1, s1, .str.39@rel32@hi+12
	s_getpc_b64 s[2:3]
	s_add_u32 s2, s2, .str.31@rel32@lo+4
	s_addc_u32 s3, s3, .str.31@rel32@hi+12
	s_getpc_b64 s[4:5]
	s_add_u32 s4, s4, __PRETTY_FUNCTION__._ZN3sop17sopDivideInternalEPNS_3SopES1_S1_S1_P7VecsMemIjLi8192EE@rel32@lo+4
	s_addc_u32 s5, s5, __PRETTY_FUNCTION__._ZN3sop17sopDivideInternalEPNS_3SopES1_S1_S1_P7VecsMemIjLi8192EE@rel32@hi+12
	s_getpc_b64 s[6:7]
	s_add_u32 s6, s6, __assert_fail@rel32@lo+4
	s_addc_u32 s7, s7, __assert_fail@rel32@hi+12
	s_mov_b64 s[8:9], s[64:65]
	v_mov_b32_e32 v0, s0
	v_mov_b32_e32 v1, s1
	v_mov_b32_e32 v2, s2
	v_mov_b32_e32 v3, s3
	v_mov_b32_e32 v4, 0x14e
	v_mov_b32_e32 v5, s4
	v_mov_b32_e32 v6, s5
	s_swappc_b64 s[30:31], s[6:7]
	s_or_b64 s[46:47], s[46:47], exec
.LBB6_1913:
	s_or_b64 exec, exec, s[88:89]
	s_andn2_b64 s[0:1], s[22:23], exec
	s_and_b64 s[2:3], s[46:47], exec
	s_or_b64 s[22:23], s[0:1], s[2:3]
	s_and_b64 s[2:3], s[44:45], exec
.LBB6_1914:
	s_or_b64 exec, exec, s[78:79]
	s_andn2_b64 s[0:1], s[26:27], exec
	s_and_b64 s[4:5], s[22:23], exec
	s_or_b64 s[44:45], s[0:1], s[4:5]
	s_and_b64 s[22:23], s[2:3], exec
.LBB6_1915:
	s_andn2_saveexec_b64 s[46:47], s[76:77]
	s_cbranch_execz .LBB6_1917
; %bb.1916:
	s_getpc_b64 s[0:1]
	s_add_u32 s0, s0, .str.38@rel32@lo+4
	s_addc_u32 s1, s1, .str.38@rel32@hi+12
	s_getpc_b64 s[2:3]
	s_add_u32 s2, s2, .str.31@rel32@lo+4
	s_addc_u32 s3, s3, .str.31@rel32@hi+12
	s_getpc_b64 s[4:5]
	s_add_u32 s4, s4, __PRETTY_FUNCTION__._ZN3sop17sopDivideInternalEPNS_3SopES1_S1_S1_P7VecsMemIjLi8192EE@rel32@lo+4
	s_addc_u32 s5, s5, __PRETTY_FUNCTION__._ZN3sop17sopDivideInternalEPNS_3SopES1_S1_S1_P7VecsMemIjLi8192EE@rel32@hi+12
	s_getpc_b64 s[6:7]
	s_add_u32 s6, s6, __assert_fail@rel32@lo+4
	s_addc_u32 s7, s7, __assert_fail@rel32@hi+12
	s_mov_b64 s[8:9], s[64:65]
	v_mov_b32_e32 v0, s0
	v_mov_b32_e32 v1, s1
	;; [unrolled: 1-line block ×7, first 2 shown]
	s_swappc_b64 s[30:31], s[6:7]
	s_or_b64 s[44:45], s[44:45], exec
.LBB6_1917:
	s_or_b64 exec, exec, s[46:47]
	s_andn2_b64 s[0:1], s[26:27], exec
	s_and_b64 s[2:3], s[44:45], exec
	s_or_b64 s[44:45], s[0:1], s[2:3]
	s_and_b64 s[46:47], s[22:23], exec
                                        ; implicit-def: $vgpr58_vgpr59
                                        ; implicit-def: $vgpr54_vgpr55
                                        ; implicit-def: $vgpr44
                                        ; implicit-def: $vgpr42_vgpr43
                                        ; implicit-def: $vgpr66_vgpr67
                                        ; implicit-def: $vgpr56
                                        ; implicit-def: $vgpr64_vgpr65
.LBB6_1918:
	s_or_saveexec_b64 s[74:75], s[74:75]
	s_mov_b64 s[76:77], 0
	s_xor_b64 exec, exec, s[74:75]
	s_cbranch_execz .LBB6_2469
; %bb.1919:
	v_mov_b32_e32 v2, -1
	s_and_saveexec_b64 s[8:9], s[62:63]
	s_cbranch_execz .LBB6_1935
; %bb.1920:
	flat_load_dword v4, v[66:67]
	s_waitcnt vmcnt(0) lgkmcnt(0)
	v_and_b32_e32 v6, 0x7ffffffe, v56
	s_mov_b32 s18, 0
	v_cmp_lt_i32_e32 vcc, 0, v56
	v_cmp_ne_u32_e64 s[0:1], 1, v56
	v_cmp_ne_u32_e64 s[2:3], v56, v6
	v_mov_b32_e32 v5, -1
	s_mov_b64 s[10:11], 0
	v_mov_b32_e32 v1, 0
	v_mov_b32_e32 v7, -1
	s_branch .LBB6_1924
.LBB6_1921:                             ;   in Loop: Header=BB6_1924 Depth=1
	s_or_b64 exec, exec, s[14:15]
.LBB6_1922:                             ;   in Loop: Header=BB6_1924 Depth=1
	s_or_b64 exec, exec, s[6:7]
	v_cmp_lt_u32_e64 s[4:5], 1, v8
	v_cmp_lt_i32_e64 s[6:7], v5, v8
	v_mov_b32_e32 v0, s18
	s_and_b64 s[4:5], s[4:5], s[6:7]
	v_cndmask_b32_e64 v7, v7, v0, s[4:5]
	v_cndmask_b32_e64 v5, v5, v8, s[4:5]
.LBB6_1923:                             ;   in Loop: Header=BB6_1924 Depth=1
	s_or_b64 exec, exec, s[12:13]
	s_add_i32 s18, s18, 1
	v_cmp_eq_u32_e64 s[4:5], s18, v44
	s_or_b64 s[10:11], s[4:5], s[10:11]
	s_andn2_b64 exec, exec, s[10:11]
	s_cbranch_execz .LBB6_1934
.LBB6_1924:                             ; =>This Loop Header: Depth=1
                                        ;     Child Loop BB6_1928 Depth 2
                                        ;     Child Loop BB6_1932 Depth 2
	v_lshrrev_b32_e32 v0, s18, v4
	v_and_b32_e32 v0, 1, v0
	v_cmp_eq_u32_e64 s[4:5], 1, v0
	s_and_saveexec_b64 s[12:13], s[4:5]
	s_cbranch_execz .LBB6_1923
; %bb.1925:                             ;   in Loop: Header=BB6_1924 Depth=1
	v_mov_b32_e32 v8, 0
	s_and_saveexec_b64 s[6:7], vcc
	s_cbranch_execz .LBB6_1922
; %bb.1926:                             ;   in Loop: Header=BB6_1924 Depth=1
	s_mov_b64 s[4:5], -1
	v_mov_b32_e32 v0, 0
	v_mov_b32_e32 v8, 0
	s_and_saveexec_b64 s[14:15], s[0:1]
	s_cbranch_execz .LBB6_1930
; %bb.1927:                             ;   in Loop: Header=BB6_1924 Depth=1
	s_mov_b32 s19, s18
	v_mov_b32_e32 v0, 0
	s_mov_b64 s[16:17], 0
	v_mov_b64_e32 v[2:3], v[64:65]
	v_mov_b32_e32 v9, v6
	v_mov_b32_e32 v8, 0
.LBB6_1928:                             ;   Parent Loop BB6_1924 Depth=1
                                        ; =>  This Inner Loop Header: Depth=2
	flat_load_dwordx2 v[10:11], v[2:3]
	v_add_u32_e32 v9, -2, v9
	v_cmp_eq_u32_e64 s[4:5], 0, v9
	v_lshl_add_u64 v[2:3], v[2:3], 0, 8
	s_or_b64 s[16:17], s[4:5], s[16:17]
	s_waitcnt vmcnt(0) lgkmcnt(0)
	v_lshrrev_b32_e32 v11, s19, v11
	v_lshrrev_b32_e32 v10, s18, v10
	v_and_b32_e32 v11, 1, v11
	v_and_b32_e32 v10, 1, v10
	v_add_u32_e32 v8, v11, v8
	v_add_u32_e32 v0, v10, v0
	s_andn2_b64 exec, exec, s[16:17]
	s_cbranch_execnz .LBB6_1928
; %bb.1929:                             ;   in Loop: Header=BB6_1924 Depth=1
	s_or_b64 exec, exec, s[16:17]
	v_add_u32_e32 v8, v0, v8
	s_orn2_b64 s[4:5], s[2:3], exec
	v_mov_b32_e32 v0, v6
.LBB6_1930:                             ;   in Loop: Header=BB6_1924 Depth=1
	s_or_b64 exec, exec, s[14:15]
	s_and_saveexec_b64 s[14:15], s[4:5]
	s_cbranch_execz .LBB6_1921
; %bb.1931:                             ;   in Loop: Header=BB6_1924 Depth=1
	v_sub_u32_e32 v9, v56, v0
	v_lshl_add_u64 v[2:3], v[0:1], 2, v[64:65]
	s_mov_b64 s[16:17], 0
.LBB6_1932:                             ;   Parent Loop BB6_1924 Depth=1
                                        ; =>  This Inner Loop Header: Depth=2
	flat_load_dword v0, v[2:3]
	v_add_u32_e32 v9, -1, v9
	v_cmp_eq_u32_e64 s[4:5], 0, v9
	v_lshl_add_u64 v[2:3], v[2:3], 0, 4
	s_or_b64 s[16:17], s[4:5], s[16:17]
	s_waitcnt vmcnt(0) lgkmcnt(0)
	v_bfe_u32 v0, v0, s18, 1
	v_add_u32_e32 v8, v0, v8
	s_andn2_b64 exec, exec, s[16:17]
	s_cbranch_execnz .LBB6_1932
; %bb.1933:                             ;   in Loop: Header=BB6_1924 Depth=1
	s_or_b64 exec, exec, s[16:17]
	s_branch .LBB6_1921
.LBB6_1934:
	s_or_b64 exec, exec, s[10:11]
	v_cmp_lt_i32_e32 vcc, -1, v5
	s_nop 1
	v_cndmask_b32_e32 v2, -1, v7, vcc
.LBB6_1935:
	s_or_b64 exec, exec, s[8:9]
	flat_load_dword v0, v[58:59]
	s_movk_i32 s6, 0x2000
	s_mov_b64 s[0:1], 0
	s_mov_b64 s[2:3], -1
	s_mov_b64 s[4:5], s[46:47]
                                        ; implicit-def: $vgpr41
	s_waitcnt vmcnt(0) lgkmcnt(0)
	v_cmp_gt_i32_e32 vcc, s6, v0
	s_mov_b64 s[6:7], s[44:45]
	s_and_saveexec_b64 s[54:55], vcc
	s_cbranch_execz .LBB6_2468
; %bb.1936:
	v_add_u32_e32 v1, 1, v0
	flat_store_dword v[58:59], v1
	v_ashrrev_i32_e32 v1, 31, v0
	v_lshl_add_u64 v[66:67], v[0:1], 2, v[58:59]
	v_lshlrev_b32_e64 v53, v2, 1
	flat_store_dword v[66:67], v53 offset:4
	flat_load_dword v70, v[54:55] offset:4
	v_mov_b32_e32 v0, 0
	v_mov_b64_e32 v[68:69], 0
	s_mov_b64 s[84:85], s[44:45]
	scratch_store_dword off, v0, s33 offset:76
	s_waitcnt vmcnt(0) lgkmcnt(0)
	v_cmp_lt_i32_e64 s[22:23], 0, v70
	s_and_saveexec_b64 s[62:63], s[22:23]
	s_cbranch_execz .LBB6_2088
; %bb.1937:
	flat_load_dword v0, v[58:59]
	s_movk_i32 s0, 0x2001
	s_mov_b64 s[72:73], 0
	v_mov_b64_e32 v[68:69], 0
	s_waitcnt vmcnt(0) lgkmcnt(0)
	v_add_u32_e32 v0, v0, v70
	v_cmp_gt_i32_e32 vcc, s0, v0
	s_and_saveexec_b64 s[0:1], vcc
	s_xor_b64 s[0:1], exec, s[0:1]
	s_cbranch_execz .LBB6_1939
; %bb.1938:
	v_ashrrev_i32_e32 v1, 31, v0
	v_mov_b32_e32 v71, 0
	flat_store_dword v[58:59], v0
	v_lshl_add_u64 v[0:1], v[0:1], 2, v[58:59]
	v_lshlrev_b64 v[2:3], 2, v[70:71]
	v_sub_co_u32_e32 v0, vcc, v0, v2
	s_mov_b64 s[72:73], exec
	s_nop 0
	v_subb_co_u32_e32 v1, vcc, v1, v3, vcc
	v_lshl_add_u64 v[68:69], v[0:1], 0, 4
.LBB6_1939:
	s_or_saveexec_b64 s[76:77], s[0:1]
	s_mov_b64 s[0:1], s[44:45]
	s_xor_b64 exec, exec, s[76:77]
	s_cbranch_execz .LBB6_2087
; %bb.1940:
	s_load_dwordx2 s[2:3], s[64:65], 0x50
	v_mbcnt_lo_u32_b32 v0, -1, 0
	v_mbcnt_hi_u32_b32 v32, -1, v0
	v_mov_b64_e32 v[4:5], 0
	v_readfirstlane_b32 s0, v32
	s_nop 1
	v_cmp_eq_u32_e64 s[0:1], s0, v32
	s_and_saveexec_b64 s[4:5], s[0:1]
	s_cbranch_execz .LBB6_1946
; %bb.1941:
	v_mov_b32_e32 v0, 0
	s_waitcnt lgkmcnt(0)
	global_load_dwordx2 v[6:7], v0, s[2:3] offset:24 sc0 sc1
	s_waitcnt vmcnt(0)
	buffer_inv sc0 sc1
	global_load_dwordx2 v[2:3], v0, s[2:3] offset:40
	global_load_dwordx2 v[4:5], v0, s[2:3]
	s_waitcnt vmcnt(1)
	v_and_b32_e32 v1, v2, v6
	v_and_b32_e32 v2, v3, v7
	v_mul_lo_u32 v2, v2, 24
	v_mul_hi_u32 v3, v1, 24
	v_add_u32_e32 v3, v3, v2
	v_mul_lo_u32 v2, v1, 24
	s_waitcnt vmcnt(0)
	v_lshl_add_u64 v[2:3], v[4:5], 0, v[2:3]
	global_load_dwordx2 v[4:5], v[2:3], off sc0 sc1
	s_waitcnt vmcnt(0)
	global_atomic_cmpswap_x2 v[4:5], v0, v[4:7], s[2:3] offset:24 sc0 sc1
	s_waitcnt vmcnt(0)
	buffer_inv sc0 sc1
	v_cmp_ne_u64_e32 vcc, v[4:5], v[6:7]
	s_and_saveexec_b64 s[6:7], vcc
	s_cbranch_execz .LBB6_1945
; %bb.1942:
	s_mov_b64 s[8:9], 0
.LBB6_1943:                             ; =>This Inner Loop Header: Depth=1
	s_sleep 1
	global_load_dwordx2 v[2:3], v0, s[2:3] offset:40
	global_load_dwordx2 v[8:9], v0, s[2:3]
	v_mov_b64_e32 v[6:7], v[4:5]
	s_waitcnt vmcnt(1)
	v_and_b32_e32 v2, v2, v6
	v_and_b32_e32 v1, v3, v7
	s_waitcnt vmcnt(0)
	v_mad_u64_u32 v[2:3], s[10:11], v2, 24, v[8:9]
	v_mov_b32_e32 v4, v3
	v_mad_u64_u32 v[4:5], s[10:11], v1, 24, v[4:5]
	v_mov_b32_e32 v3, v4
	global_load_dwordx2 v[4:5], v[2:3], off sc0 sc1
	s_waitcnt vmcnt(0)
	global_atomic_cmpswap_x2 v[4:5], v0, v[4:7], s[2:3] offset:24 sc0 sc1
	s_waitcnt vmcnt(0)
	buffer_inv sc0 sc1
	v_cmp_eq_u64_e32 vcc, v[4:5], v[6:7]
	s_or_b64 s[8:9], vcc, s[8:9]
	s_andn2_b64 exec, exec, s[8:9]
	s_cbranch_execnz .LBB6_1943
; %bb.1944:
	s_or_b64 exec, exec, s[8:9]
.LBB6_1945:
	s_or_b64 exec, exec, s[6:7]
.LBB6_1946:
	s_or_b64 exec, exec, s[4:5]
	v_mov_b32_e32 v27, 0
	s_waitcnt lgkmcnt(0)
	global_load_dwordx2 v[6:7], v27, s[2:3] offset:40
	global_load_dwordx4 v[0:3], v27, s[2:3]
	v_readfirstlane_b32 s5, v5
	v_readfirstlane_b32 s4, v4
	s_mov_b64 s[6:7], exec
	s_waitcnt vmcnt(0)
	v_readfirstlane_b32 s8, v6
	v_readfirstlane_b32 s9, v7
	s_and_b64 s[8:9], s[8:9], s[4:5]
	s_mul_i32 s10, s9, 24
	s_mul_hi_u32 s11, s8, 24
	s_add_i32 s11, s11, s10
	s_mul_i32 s10, s8, 24
	v_lshl_add_u64 v[4:5], v[0:1], 0, s[10:11]
	s_and_saveexec_b64 s[10:11], s[0:1]
	s_cbranch_execz .LBB6_1948
; %bb.1947:
	v_mov_b64_e32 v[6:7], s[6:7]
	v_mov_b32_e32 v8, 2
	v_mov_b32_e32 v9, 1
	global_store_dwordx4 v[4:5], v[6:9], off offset:8
.LBB6_1948:
	s_or_b64 exec, exec, s[10:11]
	s_lshl_b64 s[6:7], s[8:9], 12
	v_lshl_add_u64 v[6:7], v[2:3], 0, s[6:7]
	s_mov_b32 s8, 0
	v_lshlrev_b32_e32 v26, 6, v32
	v_mov_b32_e32 v8, 33
	v_mov_b32_e32 v9, v27
	;; [unrolled: 1-line block ×4, first 2 shown]
	v_readfirstlane_b32 s6, v6
	v_readfirstlane_b32 s7, v7
	s_mov_b32 s9, s8
	s_mov_b32 s10, s8
	;; [unrolled: 1-line block ×3, first 2 shown]
	s_nop 1
	global_store_dwordx4 v26, v[8:11], s[6:7]
	s_nop 1
	v_mov_b64_e32 v[8:9], s[8:9]
	v_mov_b64_e32 v[10:11], s[10:11]
	global_store_dwordx4 v26, v[8:11], s[6:7] offset:16
	global_store_dwordx4 v26, v[8:11], s[6:7] offset:32
	;; [unrolled: 1-line block ×3, first 2 shown]
	s_and_saveexec_b64 s[6:7], s[0:1]
	s_cbranch_execz .LBB6_1956
; %bb.1949:
	v_mov_b32_e32 v10, 0
	global_load_dwordx2 v[14:15], v10, s[2:3] offset:32 sc0 sc1
	global_load_dwordx2 v[2:3], v10, s[2:3] offset:40
	v_mov_b32_e32 v12, s4
	v_mov_b32_e32 v13, s5
	s_waitcnt vmcnt(0)
	v_and_b32_e32 v2, s4, v2
	v_and_b32_e32 v3, s5, v3
	v_mul_lo_u32 v3, v3, 24
	v_mul_hi_u32 v8, v2, 24
	v_mul_lo_u32 v2, v2, 24
	v_add_u32_e32 v3, v8, v3
	v_lshl_add_u64 v[8:9], v[0:1], 0, v[2:3]
	global_store_dwordx2 v[8:9], v[14:15], off
	buffer_wbl2 sc0 sc1
	s_waitcnt vmcnt(0)
	global_atomic_cmpswap_x2 v[2:3], v10, v[12:15], s[2:3] offset:32 sc0 sc1
	s_waitcnt vmcnt(0)
	v_cmp_ne_u64_e32 vcc, v[2:3], v[14:15]
	s_and_saveexec_b64 s[8:9], vcc
	s_cbranch_execz .LBB6_1952
; %bb.1950:
	s_mov_b64 s[10:11], 0
.LBB6_1951:                             ; =>This Inner Loop Header: Depth=1
	s_sleep 1
	global_store_dwordx2 v[8:9], v[2:3], off
	v_mov_b32_e32 v0, s4
	v_mov_b32_e32 v1, s5
	buffer_wbl2 sc0 sc1
	s_waitcnt vmcnt(0)
	global_atomic_cmpswap_x2 v[0:1], v10, v[0:3], s[2:3] offset:32 sc0 sc1
	s_waitcnt vmcnt(0)
	v_cmp_eq_u64_e32 vcc, v[0:1], v[2:3]
	s_or_b64 s[10:11], vcc, s[10:11]
	v_mov_b64_e32 v[2:3], v[0:1]
	s_andn2_b64 exec, exec, s[10:11]
	s_cbranch_execnz .LBB6_1951
.LBB6_1952:
	s_or_b64 exec, exec, s[8:9]
	v_mov_b32_e32 v3, 0
	global_load_dwordx2 v[0:1], v3, s[2:3] offset:16
	s_mov_b64 s[8:9], exec
	v_mbcnt_lo_u32_b32 v2, s8, 0
	v_mbcnt_hi_u32_b32 v2, s9, v2
	v_cmp_eq_u32_e32 vcc, 0, v2
	s_and_saveexec_b64 s[10:11], vcc
	s_cbranch_execz .LBB6_1954
; %bb.1953:
	s_bcnt1_i32_b64 s8, s[8:9]
	v_mov_b32_e32 v2, s8
	buffer_wbl2 sc0 sc1
	s_waitcnt vmcnt(0)
	global_atomic_add_x2 v[0:1], v[2:3], off offset:8 sc1
.LBB6_1954:
	s_or_b64 exec, exec, s[10:11]
	s_waitcnt vmcnt(0)
	global_load_dwordx2 v[2:3], v[0:1], off offset:16
	s_waitcnt vmcnt(0)
	v_cmp_eq_u64_e32 vcc, 0, v[2:3]
	s_cbranch_vccnz .LBB6_1956
; %bb.1955:
	global_load_dword v0, v[0:1], off offset:24
	v_mov_b32_e32 v1, 0
	s_waitcnt vmcnt(0)
	v_readfirstlane_b32 s8, v0
	s_and_b32 m0, s8, 0xffffff
	buffer_wbl2 sc0 sc1
	global_store_dwordx2 v[2:3], v[0:1], off sc0 sc1
	s_sendmsg sendmsg(MSG_INTERRUPT)
.LBB6_1956:
	s_or_b64 exec, exec, s[6:7]
	v_lshl_add_u64 v[0:1], v[6:7], 0, v[26:27]
	s_branch .LBB6_1960
.LBB6_1957:                             ;   in Loop: Header=BB6_1960 Depth=1
	s_or_b64 exec, exec, s[6:7]
	v_readfirstlane_b32 s6, v2
	s_cmp_eq_u32 s6, 0
	s_cbranch_scc1 .LBB6_1959
; %bb.1958:                             ;   in Loop: Header=BB6_1960 Depth=1
	s_sleep 1
	s_cbranch_execnz .LBB6_1960
	s_branch .LBB6_1962
.LBB6_1959:
	s_branch .LBB6_1962
.LBB6_1960:                             ; =>This Inner Loop Header: Depth=1
	v_mov_b32_e32 v2, 1
	s_and_saveexec_b64 s[6:7], s[0:1]
	s_cbranch_execz .LBB6_1957
; %bb.1961:                             ;   in Loop: Header=BB6_1960 Depth=1
	global_load_dword v2, v[4:5], off offset:20 sc0 sc1
	s_waitcnt vmcnt(0)
	buffer_inv sc0 sc1
	v_and_b32_e32 v2, 1, v2
	s_branch .LBB6_1957
.LBB6_1962:
	global_load_dwordx2 v[0:1], v[0:1], off
	s_and_saveexec_b64 s[6:7], s[0:1]
	s_cbranch_execz .LBB6_1965
; %bb.1963:
	v_mov_b32_e32 v8, 0
	global_load_dwordx2 v[2:3], v8, s[2:3] offset:40
	global_load_dwordx2 v[12:13], v8, s[2:3] offset:24 sc0 sc1
	global_load_dwordx2 v[4:5], v8, s[2:3]
	s_waitcnt vmcnt(2)
	v_readfirstlane_b32 s8, v2
	v_readfirstlane_b32 s9, v3
	s_add_u32 s10, s8, 1
	s_addc_u32 s11, s9, 0
	s_add_u32 s0, s10, s4
	s_addc_u32 s1, s11, s5
	s_cmp_eq_u64 s[0:1], 0
	s_cselect_b32 s1, s11, s1
	s_cselect_b32 s0, s10, s0
	s_and_b64 s[4:5], s[0:1], s[8:9]
	s_mul_i32 s5, s5, 24
	s_mul_hi_u32 s8, s4, 24
	s_mul_i32 s4, s4, 24
	s_add_i32 s5, s8, s5
	s_waitcnt vmcnt(0)
	v_lshl_add_u64 v[6:7], v[4:5], 0, s[4:5]
	v_mov_b32_e32 v10, s0
	global_store_dwordx2 v[6:7], v[12:13], off
	v_mov_b32_e32 v11, s1
	buffer_wbl2 sc0 sc1
	s_waitcnt vmcnt(0)
	global_atomic_cmpswap_x2 v[4:5], v8, v[10:13], s[2:3] offset:24 sc0 sc1
	s_mov_b64 s[4:5], 0
	s_waitcnt vmcnt(0)
	v_cmp_ne_u64_e32 vcc, v[4:5], v[12:13]
	s_and_b64 exec, exec, vcc
	s_cbranch_execz .LBB6_1965
.LBB6_1964:                             ; =>This Inner Loop Header: Depth=1
	s_sleep 1
	global_store_dwordx2 v[6:7], v[4:5], off
	v_mov_b32_e32 v2, s0
	v_mov_b32_e32 v3, s1
	buffer_wbl2 sc0 sc1
	s_waitcnt vmcnt(0)
	global_atomic_cmpswap_x2 v[2:3], v8, v[2:5], s[2:3] offset:24 sc0 sc1
	s_waitcnt vmcnt(0)
	v_cmp_eq_u64_e32 vcc, v[2:3], v[4:5]
	s_or_b64 s[4:5], vcc, s[4:5]
	v_mov_b64_e32 v[4:5], v[2:3]
	s_andn2_b64 exec, exec, s[4:5]
	s_cbranch_execnz .LBB6_1964
.LBB6_1965:
	s_or_b64 exec, exec, s[6:7]
	s_getpc_b64 s[4:5]
	s_add_u32 s4, s4, .str.28@rel32@lo+4
	s_addc_u32 s5, s5, .str.28@rel32@hi+12
	s_cmp_lg_u64 s[4:5], 0
	s_cbranch_scc0 .LBB6_2058
; %bb.1966:
	s_waitcnt vmcnt(0)
	v_and_b32_e32 v6, -3, v0
	v_mov_b32_e32 v7, v1
	s_mov_b64 s[6:7], 35
	v_mov_b32_e32 v29, 0
	v_mov_b32_e32 v4, 2
	;; [unrolled: 1-line block ×3, first 2 shown]
	s_branch .LBB6_1968
.LBB6_1967:                             ;   in Loop: Header=BB6_1968 Depth=1
	s_or_b64 exec, exec, s[12:13]
	s_sub_u32 s6, s6, s8
	s_subb_u32 s7, s7, s9
	s_add_u32 s4, s4, s8
	s_addc_u32 s5, s5, s9
	s_cmp_lg_u64 s[6:7], 0
	s_cbranch_scc0 .LBB6_2057
.LBB6_1968:                             ; =>This Loop Header: Depth=1
                                        ;     Child Loop BB6_1971 Depth 2
                                        ;     Child Loop BB6_1980 Depth 2
	;; [unrolled: 1-line block ×11, first 2 shown]
	v_cmp_lt_u64_e64 s[0:1], s[6:7], 56
	s_and_b64 s[0:1], s[0:1], exec
	s_cselect_b32 s9, s7, 0
	s_cselect_b32 s8, s6, 56
	v_cmp_gt_u64_e64 s[10:11], s[6:7], 7
	s_add_u32 s0, s4, 8
	s_addc_u32 s1, s5, 0
	s_and_b64 vcc, exec, s[10:11]
	s_cbranch_vccnz .LBB6_1972
; %bb.1969:                             ;   in Loop: Header=BB6_1968 Depth=1
	s_cmp_eq_u64 s[6:7], 0
	s_cbranch_scc1 .LBB6_1973
; %bb.1970:                             ;   in Loop: Header=BB6_1968 Depth=1
	s_lshl_b64 s[0:1], s[8:9], 3
	s_mov_b64 s[10:11], 0
	s_waitcnt vmcnt(0)
	v_mov_b64_e32 v[8:9], 0
	s_mov_b64 s[12:13], s[4:5]
.LBB6_1971:                             ;   Parent Loop BB6_1968 Depth=1
                                        ; =>  This Inner Loop Header: Depth=2
	global_load_ubyte v2, v29, s[12:13]
	s_waitcnt vmcnt(0)
	v_and_b32_e32 v28, 0xffff, v2
	v_lshlrev_b64 v[2:3], s10, v[28:29]
	s_add_u32 s10, s10, 8
	s_addc_u32 s11, s11, 0
	s_add_u32 s12, s12, 1
	s_addc_u32 s13, s13, 0
	v_or_b32_e32 v8, v2, v8
	s_cmp_lg_u32 s0, s10
	v_or_b32_e32 v9, v3, v9
	s_cbranch_scc1 .LBB6_1971
	s_branch .LBB6_1974
.LBB6_1972:                             ;   in Loop: Header=BB6_1968 Depth=1
	s_mov_b64 s[10:11], -1
	s_branch .LBB6_1975
.LBB6_1973:                             ;   in Loop: Header=BB6_1968 Depth=1
	s_waitcnt vmcnt(0)
	v_mov_b64_e32 v[8:9], 0
.LBB6_1974:                             ;   in Loop: Header=BB6_1968 Depth=1
	s_mov_b64 s[10:11], 0
	s_mov_b64 s[0:1], s[4:5]
.LBB6_1975:                             ;   in Loop: Header=BB6_1968 Depth=1
	s_andn2_b64 vcc, exec, s[10:11]
	s_mov_b32 s14, 0
	s_cbranch_vccnz .LBB6_1977
; %bb.1976:                             ;   in Loop: Header=BB6_1968 Depth=1
	global_load_dwordx2 v[8:9], v29, s[4:5]
	s_add_i32 s14, s8, -8
.LBB6_1977:                             ;   in Loop: Header=BB6_1968 Depth=1
	s_add_u32 s10, s0, 8
	s_addc_u32 s11, s1, 0
	s_cmp_gt_u32 s14, 7
	s_cbranch_scc1 .LBB6_1981
; %bb.1978:                             ;   in Loop: Header=BB6_1968 Depth=1
	s_cmp_eq_u32 s14, 0
	s_cbranch_scc1 .LBB6_1982
; %bb.1979:                             ;   in Loop: Header=BB6_1968 Depth=1
	s_mov_b64 s[10:11], 0
	v_mov_b64_e32 v[10:11], 0
	s_mov_b64 s[12:13], 0
.LBB6_1980:                             ;   Parent Loop BB6_1968 Depth=1
                                        ; =>  This Inner Loop Header: Depth=2
	s_add_u32 s16, s0, s12
	s_addc_u32 s17, s1, s13
	global_load_ubyte v2, v29, s[16:17]
	s_add_u32 s12, s12, 1
	s_addc_u32 s13, s13, 0
	s_waitcnt vmcnt(0)
	v_and_b32_e32 v28, 0xffff, v2
	v_lshlrev_b64 v[2:3], s10, v[28:29]
	s_add_u32 s10, s10, 8
	s_addc_u32 s11, s11, 0
	v_or_b32_e32 v10, v2, v10
	s_cmp_lg_u32 s14, s12
	v_or_b32_e32 v11, v3, v11
	s_cbranch_scc1 .LBB6_1980
	s_branch .LBB6_1983
.LBB6_1981:                             ;   in Loop: Header=BB6_1968 Depth=1
	s_mov_b64 s[12:13], -1
                                        ; implicit-def: $vgpr10_vgpr11
	s_branch .LBB6_1984
.LBB6_1982:                             ;   in Loop: Header=BB6_1968 Depth=1
	v_mov_b64_e32 v[10:11], 0
.LBB6_1983:                             ;   in Loop: Header=BB6_1968 Depth=1
	s_mov_b64 s[12:13], 0
	s_mov_b64 s[10:11], s[0:1]
.LBB6_1984:                             ;   in Loop: Header=BB6_1968 Depth=1
	s_andn2_b64 vcc, exec, s[12:13]
	s_mov_b32 s15, 0
	s_cbranch_vccnz .LBB6_1986
; %bb.1985:                             ;   in Loop: Header=BB6_1968 Depth=1
	global_load_dwordx2 v[10:11], v29, s[0:1]
	s_add_i32 s15, s14, -8
.LBB6_1986:                             ;   in Loop: Header=BB6_1968 Depth=1
	s_add_u32 s0, s10, 8
	s_addc_u32 s1, s11, 0
	s_cmp_gt_u32 s15, 7
	s_cbranch_scc1 .LBB6_1990
; %bb.1987:                             ;   in Loop: Header=BB6_1968 Depth=1
	s_cmp_eq_u32 s15, 0
	s_cbranch_scc1 .LBB6_1991
; %bb.1988:                             ;   in Loop: Header=BB6_1968 Depth=1
	s_mov_b64 s[0:1], 0
	v_mov_b64_e32 v[12:13], 0
	s_mov_b64 s[12:13], 0
.LBB6_1989:                             ;   Parent Loop BB6_1968 Depth=1
                                        ; =>  This Inner Loop Header: Depth=2
	s_add_u32 s16, s10, s12
	s_addc_u32 s17, s11, s13
	global_load_ubyte v2, v29, s[16:17]
	s_add_u32 s12, s12, 1
	s_addc_u32 s13, s13, 0
	s_waitcnt vmcnt(0)
	v_and_b32_e32 v28, 0xffff, v2
	v_lshlrev_b64 v[2:3], s0, v[28:29]
	s_add_u32 s0, s0, 8
	s_addc_u32 s1, s1, 0
	v_or_b32_e32 v12, v2, v12
	s_cmp_lg_u32 s15, s12
	v_or_b32_e32 v13, v3, v13
	s_cbranch_scc1 .LBB6_1989
	s_branch .LBB6_1992
.LBB6_1990:                             ;   in Loop: Header=BB6_1968 Depth=1
	s_mov_b64 s[12:13], -1
	s_branch .LBB6_1993
.LBB6_1991:                             ;   in Loop: Header=BB6_1968 Depth=1
	v_mov_b64_e32 v[12:13], 0
.LBB6_1992:                             ;   in Loop: Header=BB6_1968 Depth=1
	s_mov_b64 s[12:13], 0
	s_mov_b64 s[0:1], s[10:11]
.LBB6_1993:                             ;   in Loop: Header=BB6_1968 Depth=1
	s_andn2_b64 vcc, exec, s[12:13]
	s_mov_b32 s14, 0
	s_cbranch_vccnz .LBB6_1995
; %bb.1994:                             ;   in Loop: Header=BB6_1968 Depth=1
	global_load_dwordx2 v[12:13], v29, s[10:11]
	s_add_i32 s14, s15, -8
.LBB6_1995:                             ;   in Loop: Header=BB6_1968 Depth=1
	s_add_u32 s10, s0, 8
	s_addc_u32 s11, s1, 0
	s_cmp_gt_u32 s14, 7
	s_cbranch_scc1 .LBB6_1999
; %bb.1996:                             ;   in Loop: Header=BB6_1968 Depth=1
	s_cmp_eq_u32 s14, 0
	s_cbranch_scc1 .LBB6_2000
; %bb.1997:                             ;   in Loop: Header=BB6_1968 Depth=1
	s_mov_b64 s[10:11], 0
	v_mov_b64_e32 v[14:15], 0
	s_mov_b64 s[12:13], 0
.LBB6_1998:                             ;   Parent Loop BB6_1968 Depth=1
                                        ; =>  This Inner Loop Header: Depth=2
	s_add_u32 s16, s0, s12
	s_addc_u32 s17, s1, s13
	global_load_ubyte v2, v29, s[16:17]
	s_add_u32 s12, s12, 1
	s_addc_u32 s13, s13, 0
	s_waitcnt vmcnt(0)
	v_and_b32_e32 v28, 0xffff, v2
	v_lshlrev_b64 v[2:3], s10, v[28:29]
	s_add_u32 s10, s10, 8
	s_addc_u32 s11, s11, 0
	v_or_b32_e32 v14, v2, v14
	s_cmp_lg_u32 s14, s12
	v_or_b32_e32 v15, v3, v15
	s_cbranch_scc1 .LBB6_1998
	s_branch .LBB6_2001
.LBB6_1999:                             ;   in Loop: Header=BB6_1968 Depth=1
	s_mov_b64 s[12:13], -1
                                        ; implicit-def: $vgpr14_vgpr15
	s_branch .LBB6_2002
.LBB6_2000:                             ;   in Loop: Header=BB6_1968 Depth=1
	v_mov_b64_e32 v[14:15], 0
.LBB6_2001:                             ;   in Loop: Header=BB6_1968 Depth=1
	s_mov_b64 s[12:13], 0
	s_mov_b64 s[10:11], s[0:1]
.LBB6_2002:                             ;   in Loop: Header=BB6_1968 Depth=1
	s_andn2_b64 vcc, exec, s[12:13]
	s_mov_b32 s15, 0
	s_cbranch_vccnz .LBB6_2004
; %bb.2003:                             ;   in Loop: Header=BB6_1968 Depth=1
	global_load_dwordx2 v[14:15], v29, s[0:1]
	s_add_i32 s15, s14, -8
.LBB6_2004:                             ;   in Loop: Header=BB6_1968 Depth=1
	s_add_u32 s0, s10, 8
	s_addc_u32 s1, s11, 0
	s_cmp_gt_u32 s15, 7
	s_cbranch_scc1 .LBB6_2008
; %bb.2005:                             ;   in Loop: Header=BB6_1968 Depth=1
	s_cmp_eq_u32 s15, 0
	s_cbranch_scc1 .LBB6_2009
; %bb.2006:                             ;   in Loop: Header=BB6_1968 Depth=1
	s_mov_b64 s[0:1], 0
	v_mov_b64_e32 v[16:17], 0
	s_mov_b64 s[12:13], 0
.LBB6_2007:                             ;   Parent Loop BB6_1968 Depth=1
                                        ; =>  This Inner Loop Header: Depth=2
	s_add_u32 s16, s10, s12
	s_addc_u32 s17, s11, s13
	global_load_ubyte v2, v29, s[16:17]
	s_add_u32 s12, s12, 1
	s_addc_u32 s13, s13, 0
	s_waitcnt vmcnt(0)
	v_and_b32_e32 v28, 0xffff, v2
	v_lshlrev_b64 v[2:3], s0, v[28:29]
	s_add_u32 s0, s0, 8
	s_addc_u32 s1, s1, 0
	v_or_b32_e32 v16, v2, v16
	s_cmp_lg_u32 s15, s12
	v_or_b32_e32 v17, v3, v17
	s_cbranch_scc1 .LBB6_2007
	s_branch .LBB6_2010
.LBB6_2008:                             ;   in Loop: Header=BB6_1968 Depth=1
	s_mov_b64 s[12:13], -1
	s_branch .LBB6_2011
.LBB6_2009:                             ;   in Loop: Header=BB6_1968 Depth=1
	v_mov_b64_e32 v[16:17], 0
.LBB6_2010:                             ;   in Loop: Header=BB6_1968 Depth=1
	s_mov_b64 s[12:13], 0
	s_mov_b64 s[0:1], s[10:11]
.LBB6_2011:                             ;   in Loop: Header=BB6_1968 Depth=1
	s_andn2_b64 vcc, exec, s[12:13]
	s_mov_b32 s14, 0
	s_cbranch_vccnz .LBB6_2013
; %bb.2012:                             ;   in Loop: Header=BB6_1968 Depth=1
	global_load_dwordx2 v[16:17], v29, s[10:11]
	s_add_i32 s14, s15, -8
.LBB6_2013:                             ;   in Loop: Header=BB6_1968 Depth=1
	s_add_u32 s10, s0, 8
	s_addc_u32 s11, s1, 0
	s_cmp_gt_u32 s14, 7
	s_cbranch_scc1 .LBB6_2017
; %bb.2014:                             ;   in Loop: Header=BB6_1968 Depth=1
	s_cmp_eq_u32 s14, 0
	s_cbranch_scc1 .LBB6_2018
; %bb.2015:                             ;   in Loop: Header=BB6_1968 Depth=1
	s_mov_b64 s[10:11], 0
	v_mov_b64_e32 v[18:19], 0
	s_mov_b64 s[12:13], 0
.LBB6_2016:                             ;   Parent Loop BB6_1968 Depth=1
                                        ; =>  This Inner Loop Header: Depth=2
	s_add_u32 s16, s0, s12
	s_addc_u32 s17, s1, s13
	global_load_ubyte v2, v29, s[16:17]
	s_add_u32 s12, s12, 1
	s_addc_u32 s13, s13, 0
	s_waitcnt vmcnt(0)
	v_and_b32_e32 v28, 0xffff, v2
	v_lshlrev_b64 v[2:3], s10, v[28:29]
	s_add_u32 s10, s10, 8
	s_addc_u32 s11, s11, 0
	v_or_b32_e32 v18, v2, v18
	s_cmp_lg_u32 s14, s12
	v_or_b32_e32 v19, v3, v19
	s_cbranch_scc1 .LBB6_2016
	s_branch .LBB6_2019
.LBB6_2017:                             ;   in Loop: Header=BB6_1968 Depth=1
	s_mov_b64 s[12:13], -1
                                        ; implicit-def: $vgpr18_vgpr19
	s_branch .LBB6_2020
.LBB6_2018:                             ;   in Loop: Header=BB6_1968 Depth=1
	v_mov_b64_e32 v[18:19], 0
.LBB6_2019:                             ;   in Loop: Header=BB6_1968 Depth=1
	s_mov_b64 s[12:13], 0
	s_mov_b64 s[10:11], s[0:1]
.LBB6_2020:                             ;   in Loop: Header=BB6_1968 Depth=1
	s_andn2_b64 vcc, exec, s[12:13]
	s_mov_b32 s15, 0
	s_cbranch_vccnz .LBB6_2022
; %bb.2021:                             ;   in Loop: Header=BB6_1968 Depth=1
	global_load_dwordx2 v[18:19], v29, s[0:1]
	s_add_i32 s15, s14, -8
.LBB6_2022:                             ;   in Loop: Header=BB6_1968 Depth=1
	s_cmp_gt_u32 s15, 7
	s_cbranch_scc1 .LBB6_2026
; %bb.2023:                             ;   in Loop: Header=BB6_1968 Depth=1
	s_cmp_eq_u32 s15, 0
	s_cbranch_scc1 .LBB6_2027
; %bb.2024:                             ;   in Loop: Header=BB6_1968 Depth=1
	s_mov_b64 s[0:1], 0
	v_mov_b64_e32 v[20:21], 0
	s_mov_b64 s[12:13], s[10:11]
.LBB6_2025:                             ;   Parent Loop BB6_1968 Depth=1
                                        ; =>  This Inner Loop Header: Depth=2
	global_load_ubyte v2, v29, s[12:13]
	s_add_i32 s15, s15, -1
	s_waitcnt vmcnt(0)
	v_and_b32_e32 v28, 0xffff, v2
	v_lshlrev_b64 v[2:3], s0, v[28:29]
	s_add_u32 s0, s0, 8
	s_addc_u32 s1, s1, 0
	s_add_u32 s12, s12, 1
	s_addc_u32 s13, s13, 0
	v_or_b32_e32 v20, v2, v20
	s_cmp_lg_u32 s15, 0
	v_or_b32_e32 v21, v3, v21
	s_cbranch_scc1 .LBB6_2025
	s_branch .LBB6_2028
.LBB6_2026:                             ;   in Loop: Header=BB6_1968 Depth=1
	s_mov_b64 s[0:1], -1
	s_branch .LBB6_2029
.LBB6_2027:                             ;   in Loop: Header=BB6_1968 Depth=1
	v_mov_b64_e32 v[20:21], 0
.LBB6_2028:                             ;   in Loop: Header=BB6_1968 Depth=1
	s_mov_b64 s[0:1], 0
.LBB6_2029:                             ;   in Loop: Header=BB6_1968 Depth=1
	s_andn2_b64 vcc, exec, s[0:1]
	s_cbranch_vccnz .LBB6_2031
; %bb.2030:                             ;   in Loop: Header=BB6_1968 Depth=1
	global_load_dwordx2 v[20:21], v29, s[10:11]
.LBB6_2031:                             ;   in Loop: Header=BB6_1968 Depth=1
	v_readfirstlane_b32 s0, v32
	v_mov_b64_e32 v[2:3], 0
	s_nop 0
	v_cmp_eq_u32_e64 s[0:1], s0, v32
	s_and_saveexec_b64 s[10:11], s[0:1]
	s_cbranch_execz .LBB6_2037
; %bb.2032:                             ;   in Loop: Header=BB6_1968 Depth=1
	global_load_dwordx2 v[24:25], v29, s[2:3] offset:24 sc0 sc1
	s_waitcnt vmcnt(0)
	buffer_inv sc0 sc1
	global_load_dwordx2 v[2:3], v29, s[2:3] offset:40
	global_load_dwordx2 v[22:23], v29, s[2:3]
	s_waitcnt vmcnt(1)
	v_and_b32_e32 v2, v2, v24
	v_and_b32_e32 v3, v3, v25
	v_mul_lo_u32 v3, v3, 24
	v_mul_hi_u32 v27, v2, 24
	v_add_u32_e32 v3, v27, v3
	v_mul_lo_u32 v2, v2, 24
	s_waitcnt vmcnt(0)
	v_lshl_add_u64 v[2:3], v[22:23], 0, v[2:3]
	global_load_dwordx2 v[22:23], v[2:3], off sc0 sc1
	s_waitcnt vmcnt(0)
	global_atomic_cmpswap_x2 v[2:3], v29, v[22:25], s[2:3] offset:24 sc0 sc1
	s_waitcnt vmcnt(0)
	buffer_inv sc0 sc1
	v_cmp_ne_u64_e32 vcc, v[2:3], v[24:25]
	s_and_saveexec_b64 s[12:13], vcc
	s_cbranch_execz .LBB6_2036
; %bb.2033:                             ;   in Loop: Header=BB6_1968 Depth=1
	s_mov_b64 s[14:15], 0
.LBB6_2034:                             ;   Parent Loop BB6_1968 Depth=1
                                        ; =>  This Inner Loop Header: Depth=2
	s_sleep 1
	global_load_dwordx2 v[22:23], v29, s[2:3] offset:40
	global_load_dwordx2 v[30:31], v29, s[2:3]
	v_mov_b64_e32 v[24:25], v[2:3]
	s_waitcnt vmcnt(1)
	v_and_b32_e32 v2, v22, v24
	s_waitcnt vmcnt(0)
	v_mad_u64_u32 v[2:3], s[16:17], v2, 24, v[30:31]
	v_and_b32_e32 v23, v23, v25
	v_mov_b32_e32 v22, v3
	v_mad_u64_u32 v[22:23], s[16:17], v23, 24, v[22:23]
	v_mov_b32_e32 v3, v22
	global_load_dwordx2 v[22:23], v[2:3], off sc0 sc1
	s_waitcnt vmcnt(0)
	global_atomic_cmpswap_x2 v[2:3], v29, v[22:25], s[2:3] offset:24 sc0 sc1
	s_waitcnt vmcnt(0)
	buffer_inv sc0 sc1
	v_cmp_eq_u64_e32 vcc, v[2:3], v[24:25]
	s_or_b64 s[14:15], vcc, s[14:15]
	s_andn2_b64 exec, exec, s[14:15]
	s_cbranch_execnz .LBB6_2034
; %bb.2035:                             ;   in Loop: Header=BB6_1968 Depth=1
	s_or_b64 exec, exec, s[14:15]
.LBB6_2036:                             ;   in Loop: Header=BB6_1968 Depth=1
	s_or_b64 exec, exec, s[12:13]
.LBB6_2037:                             ;   in Loop: Header=BB6_1968 Depth=1
	s_or_b64 exec, exec, s[10:11]
	global_load_dwordx2 v[30:31], v29, s[2:3] offset:40
	global_load_dwordx4 v[22:25], v29, s[2:3]
	v_readfirstlane_b32 s11, v3
	v_readfirstlane_b32 s10, v2
	s_mov_b64 s[12:13], exec
	s_waitcnt vmcnt(1)
	v_readfirstlane_b32 s14, v30
	v_readfirstlane_b32 s15, v31
	s_and_b64 s[14:15], s[14:15], s[10:11]
	s_mul_i32 s16, s15, 24
	s_mul_hi_u32 s17, s14, 24
	s_add_i32 s17, s17, s16
	s_mul_i32 s16, s14, 24
	s_waitcnt vmcnt(0)
	v_lshl_add_u64 v[30:31], v[22:23], 0, s[16:17]
	s_and_saveexec_b64 s[16:17], s[0:1]
	s_cbranch_execz .LBB6_2039
; %bb.2038:                             ;   in Loop: Header=BB6_1968 Depth=1
	v_mov_b64_e32 v[2:3], s[12:13]
	global_store_dwordx4 v[30:31], v[2:5], off offset:8
.LBB6_2039:                             ;   in Loop: Header=BB6_1968 Depth=1
	s_or_b64 exec, exec, s[16:17]
	s_lshl_b64 s[12:13], s[14:15], 12
	v_lshl_add_u64 v[2:3], v[24:25], 0, s[12:13]
	v_cmp_gt_u64_e64 s[12:13], s[6:7], 56
	s_and_b64 s[12:13], s[12:13], exec
	s_cselect_b32 s12, 0, 2
	s_lshl_b32 s13, s8, 2
	s_add_i32 s13, s13, 28
	v_and_b32_e32 v6, 0xffffff1f, v6
	s_and_b32 s13, s13, 0x1e0
	v_or_b32_e32 v6, s12, v6
	v_or_b32_e32 v6, s13, v6
	v_readfirstlane_b32 s12, v2
	v_readfirstlane_b32 s13, v3
	s_nop 4
	global_store_dwordx4 v26, v[6:9], s[12:13]
	global_store_dwordx4 v26, v[10:13], s[12:13] offset:16
	global_store_dwordx4 v26, v[14:17], s[12:13] offset:32
	;; [unrolled: 1-line block ×3, first 2 shown]
	s_and_saveexec_b64 s[12:13], s[0:1]
	s_cbranch_execz .LBB6_2047
; %bb.2040:                             ;   in Loop: Header=BB6_1968 Depth=1
	global_load_dwordx2 v[14:15], v29, s[2:3] offset:32 sc0 sc1
	global_load_dwordx2 v[6:7], v29, s[2:3] offset:40
	v_mov_b32_e32 v12, s10
	v_mov_b32_e32 v13, s11
	s_waitcnt vmcnt(0)
	v_readfirstlane_b32 s14, v6
	v_readfirstlane_b32 s15, v7
	s_and_b64 s[14:15], s[14:15], s[10:11]
	s_mul_i32 s15, s15, 24
	s_mul_hi_u32 s16, s14, 24
	s_mul_i32 s14, s14, 24
	s_add_i32 s15, s16, s15
	v_lshl_add_u64 v[10:11], v[22:23], 0, s[14:15]
	global_store_dwordx2 v[10:11], v[14:15], off
	buffer_wbl2 sc0 sc1
	s_waitcnt vmcnt(0)
	global_atomic_cmpswap_x2 v[8:9], v29, v[12:15], s[2:3] offset:32 sc0 sc1
	s_waitcnt vmcnt(0)
	v_cmp_ne_u64_e32 vcc, v[8:9], v[14:15]
	s_and_saveexec_b64 s[14:15], vcc
	s_cbranch_execz .LBB6_2043
; %bb.2041:                             ;   in Loop: Header=BB6_1968 Depth=1
	s_mov_b64 s[16:17], 0
.LBB6_2042:                             ;   Parent Loop BB6_1968 Depth=1
                                        ; =>  This Inner Loop Header: Depth=2
	s_sleep 1
	global_store_dwordx2 v[10:11], v[8:9], off
	v_mov_b32_e32 v6, s10
	v_mov_b32_e32 v7, s11
	buffer_wbl2 sc0 sc1
	s_waitcnt vmcnt(0)
	global_atomic_cmpswap_x2 v[6:7], v29, v[6:9], s[2:3] offset:32 sc0 sc1
	s_waitcnt vmcnt(0)
	v_cmp_eq_u64_e32 vcc, v[6:7], v[8:9]
	s_or_b64 s[16:17], vcc, s[16:17]
	v_mov_b64_e32 v[8:9], v[6:7]
	s_andn2_b64 exec, exec, s[16:17]
	s_cbranch_execnz .LBB6_2042
.LBB6_2043:                             ;   in Loop: Header=BB6_1968 Depth=1
	s_or_b64 exec, exec, s[14:15]
	global_load_dwordx2 v[6:7], v29, s[2:3] offset:16
	s_mov_b64 s[16:17], exec
	v_mbcnt_lo_u32_b32 v8, s16, 0
	v_mbcnt_hi_u32_b32 v8, s17, v8
	v_cmp_eq_u32_e32 vcc, 0, v8
	s_and_saveexec_b64 s[14:15], vcc
	s_cbranch_execz .LBB6_2045
; %bb.2044:                             ;   in Loop: Header=BB6_1968 Depth=1
	s_bcnt1_i32_b64 s16, s[16:17]
	v_mov_b32_e32 v28, s16
	buffer_wbl2 sc0 sc1
	s_waitcnt vmcnt(0)
	global_atomic_add_x2 v[6:7], v[28:29], off offset:8 sc1
.LBB6_2045:                             ;   in Loop: Header=BB6_1968 Depth=1
	s_or_b64 exec, exec, s[14:15]
	s_waitcnt vmcnt(0)
	global_load_dwordx2 v[8:9], v[6:7], off offset:16
	s_waitcnt vmcnt(0)
	v_cmp_eq_u64_e32 vcc, 0, v[8:9]
	s_cbranch_vccnz .LBB6_2047
; %bb.2046:                             ;   in Loop: Header=BB6_1968 Depth=1
	global_load_dword v28, v[6:7], off offset:24
	s_waitcnt vmcnt(0)
	v_readfirstlane_b32 s14, v28
	s_and_b32 m0, s14, 0xffffff
	buffer_wbl2 sc0 sc1
	global_store_dwordx2 v[8:9], v[28:29], off sc0 sc1
	s_sendmsg sendmsg(MSG_INTERRUPT)
.LBB6_2047:                             ;   in Loop: Header=BB6_1968 Depth=1
	s_or_b64 exec, exec, s[12:13]
	v_mov_b32_e32 v27, v29
	v_lshl_add_u64 v[2:3], v[2:3], 0, v[26:27]
	s_branch .LBB6_2051
.LBB6_2048:                             ;   in Loop: Header=BB6_2051 Depth=2
	s_or_b64 exec, exec, s[12:13]
	v_readfirstlane_b32 s12, v6
	s_cmp_eq_u32 s12, 0
	s_cbranch_scc1 .LBB6_2050
; %bb.2049:                             ;   in Loop: Header=BB6_2051 Depth=2
	s_sleep 1
	s_cbranch_execnz .LBB6_2051
	s_branch .LBB6_2053
.LBB6_2050:                             ;   in Loop: Header=BB6_1968 Depth=1
	s_branch .LBB6_2053
.LBB6_2051:                             ;   Parent Loop BB6_1968 Depth=1
                                        ; =>  This Inner Loop Header: Depth=2
	v_mov_b32_e32 v6, 1
	s_and_saveexec_b64 s[12:13], s[0:1]
	s_cbranch_execz .LBB6_2048
; %bb.2052:                             ;   in Loop: Header=BB6_2051 Depth=2
	global_load_dword v6, v[30:31], off offset:20 sc0 sc1
	s_waitcnt vmcnt(0)
	buffer_inv sc0 sc1
	v_and_b32_e32 v6, 1, v6
	s_branch .LBB6_2048
.LBB6_2053:                             ;   in Loop: Header=BB6_1968 Depth=1
	global_load_dwordx4 v[6:9], v[2:3], off
	s_and_saveexec_b64 s[12:13], s[0:1]
	s_cbranch_execz .LBB6_1967
; %bb.2054:                             ;   in Loop: Header=BB6_1968 Depth=1
	global_load_dwordx2 v[2:3], v29, s[2:3] offset:40
	global_load_dwordx2 v[12:13], v29, s[2:3] offset:24 sc0 sc1
	global_load_dwordx2 v[8:9], v29, s[2:3]
	s_waitcnt vmcnt(2)
	v_readfirstlane_b32 s14, v2
	v_readfirstlane_b32 s15, v3
	s_add_u32 s16, s14, 1
	s_addc_u32 s17, s15, 0
	s_add_u32 s0, s16, s10
	s_addc_u32 s1, s17, s11
	s_cmp_eq_u64 s[0:1], 0
	s_cselect_b32 s1, s17, s1
	s_cselect_b32 s0, s16, s0
	s_and_b64 s[10:11], s[0:1], s[14:15]
	s_mul_i32 s11, s11, 24
	s_mul_hi_u32 s14, s10, 24
	s_mul_i32 s10, s10, 24
	s_add_i32 s11, s14, s11
	s_waitcnt vmcnt(0)
	v_lshl_add_u64 v[2:3], v[8:9], 0, s[10:11]
	v_mov_b32_e32 v10, s0
	global_store_dwordx2 v[2:3], v[12:13], off
	v_mov_b32_e32 v11, s1
	buffer_wbl2 sc0 sc1
	s_waitcnt vmcnt(0)
	global_atomic_cmpswap_x2 v[10:11], v29, v[10:13], s[2:3] offset:24 sc0 sc1
	s_waitcnt vmcnt(0)
	v_cmp_ne_u64_e32 vcc, v[10:11], v[12:13]
	s_and_b64 exec, exec, vcc
	s_cbranch_execz .LBB6_1967
; %bb.2055:                             ;   in Loop: Header=BB6_1968 Depth=1
	s_mov_b64 s[10:11], 0
.LBB6_2056:                             ;   Parent Loop BB6_1968 Depth=1
                                        ; =>  This Inner Loop Header: Depth=2
	s_sleep 1
	global_store_dwordx2 v[2:3], v[10:11], off
	v_mov_b32_e32 v8, s0
	v_mov_b32_e32 v9, s1
	buffer_wbl2 sc0 sc1
	s_waitcnt vmcnt(0)
	global_atomic_cmpswap_x2 v[8:9], v29, v[8:11], s[2:3] offset:24 sc0 sc1
	s_waitcnt vmcnt(0)
	v_cmp_eq_u64_e32 vcc, v[8:9], v[10:11]
	s_or_b64 s[10:11], vcc, s[10:11]
	v_mov_b64_e32 v[10:11], v[8:9]
	s_andn2_b64 exec, exec, s[10:11]
	s_cbranch_execnz .LBB6_2056
	s_branch .LBB6_1967
.LBB6_2057:
	s_mov_b64 s[0:1], 0
	s_branch .LBB6_2059
.LBB6_2058:
	s_mov_b64 s[0:1], -1
.LBB6_2059:
	s_and_b64 vcc, exec, s[0:1]
	s_cbranch_vccz .LBB6_2086
; %bb.2060:
	v_readfirstlane_b32 s0, v32
	s_waitcnt vmcnt(0)
	v_mov_b64_e32 v[8:9], 0
	v_cmp_eq_u32_e64 s[0:1], s0, v32
	s_and_saveexec_b64 s[4:5], s[0:1]
	s_cbranch_execz .LBB6_2066
; %bb.2061:
	v_mov_b32_e32 v2, 0
	global_load_dwordx2 v[6:7], v2, s[2:3] offset:24 sc0 sc1
	s_waitcnt vmcnt(0)
	buffer_inv sc0 sc1
	global_load_dwordx2 v[4:5], v2, s[2:3] offset:40
	global_load_dwordx2 v[8:9], v2, s[2:3]
	s_waitcnt vmcnt(1)
	v_and_b32_e32 v3, v4, v6
	v_and_b32_e32 v4, v5, v7
	v_mul_lo_u32 v4, v4, 24
	v_mul_hi_u32 v5, v3, 24
	v_add_u32_e32 v5, v5, v4
	v_mul_lo_u32 v4, v3, 24
	s_waitcnt vmcnt(0)
	v_lshl_add_u64 v[4:5], v[8:9], 0, v[4:5]
	global_load_dwordx2 v[4:5], v[4:5], off sc0 sc1
	s_waitcnt vmcnt(0)
	global_atomic_cmpswap_x2 v[8:9], v2, v[4:7], s[2:3] offset:24 sc0 sc1
	s_waitcnt vmcnt(0)
	buffer_inv sc0 sc1
	v_cmp_ne_u64_e32 vcc, v[8:9], v[6:7]
	s_and_saveexec_b64 s[6:7], vcc
	s_cbranch_execz .LBB6_2065
; %bb.2062:
	s_mov_b64 s[8:9], 0
.LBB6_2063:                             ; =>This Inner Loop Header: Depth=1
	s_sleep 1
	global_load_dwordx2 v[4:5], v2, s[2:3] offset:40
	global_load_dwordx2 v[10:11], v2, s[2:3]
	v_mov_b64_e32 v[6:7], v[8:9]
	s_waitcnt vmcnt(1)
	v_and_b32_e32 v4, v4, v6
	v_and_b32_e32 v3, v5, v7
	s_waitcnt vmcnt(0)
	v_mad_u64_u32 v[4:5], s[10:11], v4, 24, v[10:11]
	v_mov_b32_e32 v8, v5
	v_mad_u64_u32 v[8:9], s[10:11], v3, 24, v[8:9]
	v_mov_b32_e32 v5, v8
	global_load_dwordx2 v[4:5], v[4:5], off sc0 sc1
	s_waitcnt vmcnt(0)
	global_atomic_cmpswap_x2 v[8:9], v2, v[4:7], s[2:3] offset:24 sc0 sc1
	s_waitcnt vmcnt(0)
	buffer_inv sc0 sc1
	v_cmp_eq_u64_e32 vcc, v[8:9], v[6:7]
	s_or_b64 s[8:9], vcc, s[8:9]
	s_andn2_b64 exec, exec, s[8:9]
	s_cbranch_execnz .LBB6_2063
; %bb.2064:
	s_or_b64 exec, exec, s[8:9]
.LBB6_2065:
	s_or_b64 exec, exec, s[6:7]
.LBB6_2066:
	s_or_b64 exec, exec, s[4:5]
	v_mov_b32_e32 v2, 0
	global_load_dwordx2 v[10:11], v2, s[2:3] offset:40
	global_load_dwordx4 v[4:7], v2, s[2:3]
	v_readfirstlane_b32 s5, v9
	v_readfirstlane_b32 s4, v8
	s_mov_b64 s[6:7], exec
	s_waitcnt vmcnt(1)
	v_readfirstlane_b32 s8, v10
	v_readfirstlane_b32 s9, v11
	s_and_b64 s[8:9], s[8:9], s[4:5]
	s_mul_i32 s10, s9, 24
	s_mul_hi_u32 s11, s8, 24
	s_add_i32 s11, s11, s10
	s_mul_i32 s10, s8, 24
	s_waitcnt vmcnt(0)
	v_lshl_add_u64 v[8:9], v[4:5], 0, s[10:11]
	s_and_saveexec_b64 s[10:11], s[0:1]
	s_cbranch_execz .LBB6_2068
; %bb.2067:
	v_mov_b64_e32 v[10:11], s[6:7]
	v_mov_b32_e32 v12, 2
	v_mov_b32_e32 v13, 1
	global_store_dwordx4 v[8:9], v[10:13], off offset:8
.LBB6_2068:
	s_or_b64 exec, exec, s[10:11]
	s_lshl_b64 s[6:7], s[8:9], 12
	v_lshl_add_u64 v[6:7], v[6:7], 0, s[6:7]
	s_movk_i32 s6, 0xff1d
	s_mov_b32 s8, 0
	v_and_or_b32 v0, v0, s6, 34
	v_mov_b32_e32 v3, v2
	v_readfirstlane_b32 s6, v6
	v_readfirstlane_b32 s7, v7
	s_mov_b32 s9, s8
	s_mov_b32 s10, s8
	;; [unrolled: 1-line block ×3, first 2 shown]
	s_nop 1
	global_store_dwordx4 v26, v[0:3], s[6:7]
	s_nop 1
	v_mov_b64_e32 v[0:1], s[8:9]
	v_mov_b64_e32 v[2:3], s[10:11]
	global_store_dwordx4 v26, v[0:3], s[6:7] offset:16
	global_store_dwordx4 v26, v[0:3], s[6:7] offset:32
	;; [unrolled: 1-line block ×3, first 2 shown]
	s_and_saveexec_b64 s[6:7], s[0:1]
	s_cbranch_execz .LBB6_2076
; %bb.2069:
	v_mov_b32_e32 v6, 0
	global_load_dwordx2 v[12:13], v6, s[2:3] offset:32 sc0 sc1
	global_load_dwordx2 v[0:1], v6, s[2:3] offset:40
	v_mov_b32_e32 v10, s4
	v_mov_b32_e32 v11, s5
	s_waitcnt vmcnt(0)
	v_readfirstlane_b32 s8, v0
	v_readfirstlane_b32 s9, v1
	s_and_b64 s[8:9], s[8:9], s[4:5]
	s_mul_i32 s9, s9, 24
	s_mul_hi_u32 s10, s8, 24
	s_mul_i32 s8, s8, 24
	s_add_i32 s9, s10, s9
	v_lshl_add_u64 v[4:5], v[4:5], 0, s[8:9]
	global_store_dwordx2 v[4:5], v[12:13], off
	buffer_wbl2 sc0 sc1
	s_waitcnt vmcnt(0)
	global_atomic_cmpswap_x2 v[2:3], v6, v[10:13], s[2:3] offset:32 sc0 sc1
	s_waitcnt vmcnt(0)
	v_cmp_ne_u64_e32 vcc, v[2:3], v[12:13]
	s_and_saveexec_b64 s[8:9], vcc
	s_cbranch_execz .LBB6_2072
; %bb.2070:
	s_mov_b64 s[10:11], 0
.LBB6_2071:                             ; =>This Inner Loop Header: Depth=1
	s_sleep 1
	global_store_dwordx2 v[4:5], v[2:3], off
	v_mov_b32_e32 v0, s4
	v_mov_b32_e32 v1, s5
	buffer_wbl2 sc0 sc1
	s_waitcnt vmcnt(0)
	global_atomic_cmpswap_x2 v[0:1], v6, v[0:3], s[2:3] offset:32 sc0 sc1
	s_waitcnt vmcnt(0)
	v_cmp_eq_u64_e32 vcc, v[0:1], v[2:3]
	s_or_b64 s[10:11], vcc, s[10:11]
	v_mov_b64_e32 v[2:3], v[0:1]
	s_andn2_b64 exec, exec, s[10:11]
	s_cbranch_execnz .LBB6_2071
.LBB6_2072:
	s_or_b64 exec, exec, s[8:9]
	v_mov_b32_e32 v3, 0
	global_load_dwordx2 v[0:1], v3, s[2:3] offset:16
	s_mov_b64 s[8:9], exec
	v_mbcnt_lo_u32_b32 v2, s8, 0
	v_mbcnt_hi_u32_b32 v2, s9, v2
	v_cmp_eq_u32_e32 vcc, 0, v2
	s_and_saveexec_b64 s[10:11], vcc
	s_cbranch_execz .LBB6_2074
; %bb.2073:
	s_bcnt1_i32_b64 s8, s[8:9]
	v_mov_b32_e32 v2, s8
	buffer_wbl2 sc0 sc1
	s_waitcnt vmcnt(0)
	global_atomic_add_x2 v[0:1], v[2:3], off offset:8 sc1
.LBB6_2074:
	s_or_b64 exec, exec, s[10:11]
	s_waitcnt vmcnt(0)
	global_load_dwordx2 v[2:3], v[0:1], off offset:16
	s_waitcnt vmcnt(0)
	v_cmp_eq_u64_e32 vcc, 0, v[2:3]
	s_cbranch_vccnz .LBB6_2076
; %bb.2075:
	global_load_dword v0, v[0:1], off offset:24
	v_mov_b32_e32 v1, 0
	s_waitcnt vmcnt(0)
	v_readfirstlane_b32 s8, v0
	s_and_b32 m0, s8, 0xffffff
	buffer_wbl2 sc0 sc1
	global_store_dwordx2 v[2:3], v[0:1], off sc0 sc1
	s_sendmsg sendmsg(MSG_INTERRUPT)
.LBB6_2076:
	s_or_b64 exec, exec, s[6:7]
	s_branch .LBB6_2080
.LBB6_2077:                             ;   in Loop: Header=BB6_2080 Depth=1
	s_or_b64 exec, exec, s[6:7]
	v_readfirstlane_b32 s6, v0
	s_cmp_eq_u32 s6, 0
	s_cbranch_scc1 .LBB6_2079
; %bb.2078:                             ;   in Loop: Header=BB6_2080 Depth=1
	s_sleep 1
	s_cbranch_execnz .LBB6_2080
	s_branch .LBB6_2082
.LBB6_2079:
	s_branch .LBB6_2082
.LBB6_2080:                             ; =>This Inner Loop Header: Depth=1
	v_mov_b32_e32 v0, 1
	s_and_saveexec_b64 s[6:7], s[0:1]
	s_cbranch_execz .LBB6_2077
; %bb.2081:                             ;   in Loop: Header=BB6_2080 Depth=1
	global_load_dword v0, v[8:9], off offset:20 sc0 sc1
	s_waitcnt vmcnt(0)
	buffer_inv sc0 sc1
	v_and_b32_e32 v0, 1, v0
	s_branch .LBB6_2077
.LBB6_2082:
	s_and_saveexec_b64 s[6:7], s[0:1]
	s_cbranch_execz .LBB6_2085
; %bb.2083:
	v_mov_b32_e32 v6, 0
	global_load_dwordx2 v[0:1], v6, s[2:3] offset:40
	global_load_dwordx2 v[10:11], v6, s[2:3] offset:24 sc0 sc1
	global_load_dwordx2 v[2:3], v6, s[2:3]
	s_waitcnt vmcnt(2)
	v_readfirstlane_b32 s8, v0
	v_readfirstlane_b32 s9, v1
	s_add_u32 s10, s8, 1
	s_addc_u32 s11, s9, 0
	s_add_u32 s0, s10, s4
	s_addc_u32 s1, s11, s5
	s_cmp_eq_u64 s[0:1], 0
	s_cselect_b32 s1, s11, s1
	s_cselect_b32 s0, s10, s0
	s_and_b64 s[4:5], s[0:1], s[8:9]
	s_mul_i32 s5, s5, 24
	s_mul_hi_u32 s8, s4, 24
	s_mul_i32 s4, s4, 24
	s_add_i32 s5, s8, s5
	s_waitcnt vmcnt(0)
	v_lshl_add_u64 v[4:5], v[2:3], 0, s[4:5]
	v_mov_b32_e32 v8, s0
	global_store_dwordx2 v[4:5], v[10:11], off
	v_mov_b32_e32 v9, s1
	buffer_wbl2 sc0 sc1
	s_waitcnt vmcnt(0)
	global_atomic_cmpswap_x2 v[2:3], v6, v[8:11], s[2:3] offset:24 sc0 sc1
	s_mov_b64 s[4:5], 0
	s_waitcnt vmcnt(0)
	v_cmp_ne_u64_e32 vcc, v[2:3], v[10:11]
	s_and_b64 exec, exec, vcc
	s_cbranch_execz .LBB6_2085
.LBB6_2084:                             ; =>This Inner Loop Header: Depth=1
	s_sleep 1
	global_store_dwordx2 v[4:5], v[2:3], off
	v_mov_b32_e32 v0, s0
	v_mov_b32_e32 v1, s1
	buffer_wbl2 sc0 sc1
	s_waitcnt vmcnt(0)
	global_atomic_cmpswap_x2 v[0:1], v6, v[0:3], s[2:3] offset:24 sc0 sc1
	s_waitcnt vmcnt(0)
	v_cmp_eq_u64_e32 vcc, v[0:1], v[2:3]
	s_or_b64 s[4:5], vcc, s[4:5]
	v_mov_b64_e32 v[2:3], v[0:1]
	s_andn2_b64 exec, exec, s[4:5]
	s_cbranch_execnz .LBB6_2084
.LBB6_2085:
	s_or_b64 exec, exec, s[6:7]
.LBB6_2086:
	s_getpc_b64 s[0:1]
	s_add_u32 s0, s0, .str.29@rel32@lo+4
	s_addc_u32 s1, s1, .str.29@rel32@hi+12
	s_getpc_b64 s[2:3]
	s_add_u32 s2, s2, .str.19@rel32@lo+4
	s_addc_u32 s3, s3, .str.19@rel32@hi+12
	s_getpc_b64 s[4:5]
	s_add_u32 s4, s4, __PRETTY_FUNCTION__._ZN7VecsMemIjLi8192EE5fetchEi@rel32@lo+4
	s_addc_u32 s5, s5, __PRETTY_FUNCTION__._ZN7VecsMemIjLi8192EE5fetchEi@rel32@hi+12
	s_getpc_b64 s[6:7]
	s_add_u32 s6, s6, __assert_fail@rel32@lo+4
	s_addc_u32 s7, s7, __assert_fail@rel32@hi+12
	s_mov_b64 s[8:9], s[64:65]
	s_waitcnt vmcnt(0)
	v_mov_b32_e32 v0, s0
	v_mov_b32_e32 v1, s1
	;; [unrolled: 1-line block ×7, first 2 shown]
	s_swappc_b64 s[30:31], s[6:7]
	s_or_b64 s[0:1], s[44:45], exec
.LBB6_2087:
	s_or_b64 exec, exec, s[76:77]
	s_andn2_b64 s[2:3], s[44:45], exec
	s_and_b64 s[0:1], s[0:1], exec
	s_or_b64 s[84:85], s[2:3], s[0:1]
	s_orn2_b64 s[2:3], s[72:73], exec
.LBB6_2088:
	s_or_b64 exec, exec, s[62:63]
	s_mov_b64 s[0:1], 0
	s_mov_b64 s[4:5], s[46:47]
                                        ; implicit-def: $vgpr41
	s_and_saveexec_b64 s[50:51], s[2:3]
	s_cbranch_execz .LBB6_2467
; %bb.2089:
	v_mov_b32_e32 v0, 0
	s_mov_b64 s[4:5], -1
	v_mov_b64_e32 v[80:81], 0
	s_mov_b64 s[10:11], s[84:85]
	scratch_store_dwordx2 off, v[68:69], s33 offset:80
	scratch_store_dword off, v0, s33 offset:92
	s_and_saveexec_b64 s[62:63], s[22:23]
	s_cbranch_execz .LBB6_2241
; %bb.2090:
	flat_load_dword v0, v[58:59]
	s_movk_i32 s0, 0x2001
	s_mov_b64 s[22:23], 0
	v_mov_b64_e32 v[80:81], 0
	s_waitcnt vmcnt(0) lgkmcnt(0)
	v_add_u32_e32 v0, v0, v70
	v_cmp_gt_i32_e32 vcc, s0, v0
	s_and_saveexec_b64 s[0:1], vcc
	s_xor_b64 s[0:1], exec, s[0:1]
	s_cbranch_execz .LBB6_2092
; %bb.2091:
	v_ashrrev_i32_e32 v1, 31, v0
	v_mov_b32_e32 v71, 0
	flat_store_dword v[58:59], v0
	v_lshl_add_u64 v[0:1], v[0:1], 2, v[58:59]
	v_lshlrev_b64 v[2:3], 2, v[70:71]
	v_sub_co_u32_e32 v0, vcc, v0, v2
	s_mov_b64 s[22:23], exec
	s_nop 0
	v_subb_co_u32_e32 v1, vcc, v1, v3, vcc
	v_lshl_add_u64 v[80:81], v[0:1], 0, 4
.LBB6_2092:
	s_or_saveexec_b64 s[72:73], s[0:1]
	s_mov_b64 s[0:1], s[84:85]
	s_xor_b64 exec, exec, s[72:73]
	s_cbranch_execz .LBB6_2240
; %bb.2093:
	s_load_dwordx2 s[2:3], s[64:65], 0x50
	v_mbcnt_lo_u32_b32 v0, -1, 0
	v_mbcnt_hi_u32_b32 v32, -1, v0
	v_mov_b64_e32 v[4:5], 0
	v_readfirstlane_b32 s0, v32
	s_nop 1
	v_cmp_eq_u32_e64 s[0:1], s0, v32
	s_and_saveexec_b64 s[4:5], s[0:1]
	s_cbranch_execz .LBB6_2099
; %bb.2094:
	v_mov_b32_e32 v0, 0
	s_waitcnt lgkmcnt(0)
	global_load_dwordx2 v[6:7], v0, s[2:3] offset:24 sc0 sc1
	s_waitcnt vmcnt(0)
	buffer_inv sc0 sc1
	global_load_dwordx2 v[2:3], v0, s[2:3] offset:40
	global_load_dwordx2 v[4:5], v0, s[2:3]
	s_waitcnt vmcnt(1)
	v_and_b32_e32 v1, v2, v6
	v_and_b32_e32 v2, v3, v7
	v_mul_lo_u32 v2, v2, 24
	v_mul_hi_u32 v3, v1, 24
	v_add_u32_e32 v3, v3, v2
	v_mul_lo_u32 v2, v1, 24
	s_waitcnt vmcnt(0)
	v_lshl_add_u64 v[2:3], v[4:5], 0, v[2:3]
	global_load_dwordx2 v[4:5], v[2:3], off sc0 sc1
	s_waitcnt vmcnt(0)
	global_atomic_cmpswap_x2 v[4:5], v0, v[4:7], s[2:3] offset:24 sc0 sc1
	s_waitcnt vmcnt(0)
	buffer_inv sc0 sc1
	v_cmp_ne_u64_e32 vcc, v[4:5], v[6:7]
	s_and_saveexec_b64 s[6:7], vcc
	s_cbranch_execz .LBB6_2098
; %bb.2095:
	s_mov_b64 s[8:9], 0
.LBB6_2096:                             ; =>This Inner Loop Header: Depth=1
	s_sleep 1
	global_load_dwordx2 v[2:3], v0, s[2:3] offset:40
	global_load_dwordx2 v[8:9], v0, s[2:3]
	v_mov_b64_e32 v[6:7], v[4:5]
	s_waitcnt vmcnt(1)
	v_and_b32_e32 v2, v2, v6
	v_and_b32_e32 v1, v3, v7
	s_waitcnt vmcnt(0)
	v_mad_u64_u32 v[2:3], s[10:11], v2, 24, v[8:9]
	v_mov_b32_e32 v4, v3
	v_mad_u64_u32 v[4:5], s[10:11], v1, 24, v[4:5]
	v_mov_b32_e32 v3, v4
	global_load_dwordx2 v[4:5], v[2:3], off sc0 sc1
	s_waitcnt vmcnt(0)
	global_atomic_cmpswap_x2 v[4:5], v0, v[4:7], s[2:3] offset:24 sc0 sc1
	s_waitcnt vmcnt(0)
	buffer_inv sc0 sc1
	v_cmp_eq_u64_e32 vcc, v[4:5], v[6:7]
	s_or_b64 s[8:9], vcc, s[8:9]
	s_andn2_b64 exec, exec, s[8:9]
	s_cbranch_execnz .LBB6_2096
; %bb.2097:
	s_or_b64 exec, exec, s[8:9]
.LBB6_2098:
	s_or_b64 exec, exec, s[6:7]
.LBB6_2099:
	s_or_b64 exec, exec, s[4:5]
	v_mov_b32_e32 v27, 0
	s_waitcnt lgkmcnt(0)
	global_load_dwordx2 v[6:7], v27, s[2:3] offset:40
	global_load_dwordx4 v[0:3], v27, s[2:3]
	v_readfirstlane_b32 s5, v5
	v_readfirstlane_b32 s4, v4
	s_mov_b64 s[6:7], exec
	s_waitcnt vmcnt(0)
	v_readfirstlane_b32 s8, v6
	v_readfirstlane_b32 s9, v7
	s_and_b64 s[8:9], s[8:9], s[4:5]
	s_mul_i32 s10, s9, 24
	s_mul_hi_u32 s11, s8, 24
	s_add_i32 s11, s11, s10
	s_mul_i32 s10, s8, 24
	v_lshl_add_u64 v[4:5], v[0:1], 0, s[10:11]
	s_and_saveexec_b64 s[10:11], s[0:1]
	s_cbranch_execz .LBB6_2101
; %bb.2100:
	v_mov_b64_e32 v[6:7], s[6:7]
	v_mov_b32_e32 v8, 2
	v_mov_b32_e32 v9, 1
	global_store_dwordx4 v[4:5], v[6:9], off offset:8
.LBB6_2101:
	s_or_b64 exec, exec, s[10:11]
	s_lshl_b64 s[6:7], s[8:9], 12
	v_lshl_add_u64 v[6:7], v[2:3], 0, s[6:7]
	s_mov_b32 s8, 0
	v_lshlrev_b32_e32 v26, 6, v32
	v_mov_b32_e32 v8, 33
	v_mov_b32_e32 v9, v27
	;; [unrolled: 1-line block ×4, first 2 shown]
	v_readfirstlane_b32 s6, v6
	v_readfirstlane_b32 s7, v7
	s_mov_b32 s9, s8
	s_mov_b32 s10, s8
	;; [unrolled: 1-line block ×3, first 2 shown]
	s_nop 1
	global_store_dwordx4 v26, v[8:11], s[6:7]
	s_nop 1
	v_mov_b64_e32 v[8:9], s[8:9]
	v_mov_b64_e32 v[10:11], s[10:11]
	global_store_dwordx4 v26, v[8:11], s[6:7] offset:16
	global_store_dwordx4 v26, v[8:11], s[6:7] offset:32
	;; [unrolled: 1-line block ×3, first 2 shown]
	s_and_saveexec_b64 s[6:7], s[0:1]
	s_cbranch_execz .LBB6_2109
; %bb.2102:
	v_mov_b32_e32 v10, 0
	global_load_dwordx2 v[14:15], v10, s[2:3] offset:32 sc0 sc1
	global_load_dwordx2 v[2:3], v10, s[2:3] offset:40
	v_mov_b32_e32 v12, s4
	v_mov_b32_e32 v13, s5
	s_waitcnt vmcnt(0)
	v_and_b32_e32 v2, s4, v2
	v_and_b32_e32 v3, s5, v3
	v_mul_lo_u32 v3, v3, 24
	v_mul_hi_u32 v8, v2, 24
	v_mul_lo_u32 v2, v2, 24
	v_add_u32_e32 v3, v8, v3
	v_lshl_add_u64 v[8:9], v[0:1], 0, v[2:3]
	global_store_dwordx2 v[8:9], v[14:15], off
	buffer_wbl2 sc0 sc1
	s_waitcnt vmcnt(0)
	global_atomic_cmpswap_x2 v[2:3], v10, v[12:15], s[2:3] offset:32 sc0 sc1
	s_waitcnt vmcnt(0)
	v_cmp_ne_u64_e32 vcc, v[2:3], v[14:15]
	s_and_saveexec_b64 s[8:9], vcc
	s_cbranch_execz .LBB6_2105
; %bb.2103:
	s_mov_b64 s[10:11], 0
.LBB6_2104:                             ; =>This Inner Loop Header: Depth=1
	s_sleep 1
	global_store_dwordx2 v[8:9], v[2:3], off
	v_mov_b32_e32 v0, s4
	v_mov_b32_e32 v1, s5
	buffer_wbl2 sc0 sc1
	s_waitcnt vmcnt(0)
	global_atomic_cmpswap_x2 v[0:1], v10, v[0:3], s[2:3] offset:32 sc0 sc1
	s_waitcnt vmcnt(0)
	v_cmp_eq_u64_e32 vcc, v[0:1], v[2:3]
	s_or_b64 s[10:11], vcc, s[10:11]
	v_mov_b64_e32 v[2:3], v[0:1]
	s_andn2_b64 exec, exec, s[10:11]
	s_cbranch_execnz .LBB6_2104
.LBB6_2105:
	s_or_b64 exec, exec, s[8:9]
	v_mov_b32_e32 v3, 0
	global_load_dwordx2 v[0:1], v3, s[2:3] offset:16
	s_mov_b64 s[8:9], exec
	v_mbcnt_lo_u32_b32 v2, s8, 0
	v_mbcnt_hi_u32_b32 v2, s9, v2
	v_cmp_eq_u32_e32 vcc, 0, v2
	s_and_saveexec_b64 s[10:11], vcc
	s_cbranch_execz .LBB6_2107
; %bb.2106:
	s_bcnt1_i32_b64 s8, s[8:9]
	v_mov_b32_e32 v2, s8
	buffer_wbl2 sc0 sc1
	s_waitcnt vmcnt(0)
	global_atomic_add_x2 v[0:1], v[2:3], off offset:8 sc1
.LBB6_2107:
	s_or_b64 exec, exec, s[10:11]
	s_waitcnt vmcnt(0)
	global_load_dwordx2 v[2:3], v[0:1], off offset:16
	s_waitcnt vmcnt(0)
	v_cmp_eq_u64_e32 vcc, 0, v[2:3]
	s_cbranch_vccnz .LBB6_2109
; %bb.2108:
	global_load_dword v0, v[0:1], off offset:24
	v_mov_b32_e32 v1, 0
	s_waitcnt vmcnt(0)
	v_readfirstlane_b32 s8, v0
	s_and_b32 m0, s8, 0xffffff
	buffer_wbl2 sc0 sc1
	global_store_dwordx2 v[2:3], v[0:1], off sc0 sc1
	s_sendmsg sendmsg(MSG_INTERRUPT)
.LBB6_2109:
	s_or_b64 exec, exec, s[6:7]
	v_lshl_add_u64 v[0:1], v[6:7], 0, v[26:27]
	s_branch .LBB6_2113
.LBB6_2110:                             ;   in Loop: Header=BB6_2113 Depth=1
	s_or_b64 exec, exec, s[6:7]
	v_readfirstlane_b32 s6, v2
	s_cmp_eq_u32 s6, 0
	s_cbranch_scc1 .LBB6_2112
; %bb.2111:                             ;   in Loop: Header=BB6_2113 Depth=1
	s_sleep 1
	s_cbranch_execnz .LBB6_2113
	s_branch .LBB6_2115
.LBB6_2112:
	s_branch .LBB6_2115
.LBB6_2113:                             ; =>This Inner Loop Header: Depth=1
	v_mov_b32_e32 v2, 1
	s_and_saveexec_b64 s[6:7], s[0:1]
	s_cbranch_execz .LBB6_2110
; %bb.2114:                             ;   in Loop: Header=BB6_2113 Depth=1
	global_load_dword v2, v[4:5], off offset:20 sc0 sc1
	s_waitcnt vmcnt(0)
	buffer_inv sc0 sc1
	v_and_b32_e32 v2, 1, v2
	s_branch .LBB6_2110
.LBB6_2115:
	global_load_dwordx2 v[0:1], v[0:1], off
	s_and_saveexec_b64 s[6:7], s[0:1]
	s_cbranch_execz .LBB6_2118
; %bb.2116:
	v_mov_b32_e32 v8, 0
	global_load_dwordx2 v[2:3], v8, s[2:3] offset:40
	global_load_dwordx2 v[12:13], v8, s[2:3] offset:24 sc0 sc1
	global_load_dwordx2 v[4:5], v8, s[2:3]
	s_waitcnt vmcnt(2)
	v_readfirstlane_b32 s8, v2
	v_readfirstlane_b32 s9, v3
	s_add_u32 s10, s8, 1
	s_addc_u32 s11, s9, 0
	s_add_u32 s0, s10, s4
	s_addc_u32 s1, s11, s5
	s_cmp_eq_u64 s[0:1], 0
	s_cselect_b32 s1, s11, s1
	s_cselect_b32 s0, s10, s0
	s_and_b64 s[4:5], s[0:1], s[8:9]
	s_mul_i32 s5, s5, 24
	s_mul_hi_u32 s8, s4, 24
	s_mul_i32 s4, s4, 24
	s_add_i32 s5, s8, s5
	s_waitcnt vmcnt(0)
	v_lshl_add_u64 v[6:7], v[4:5], 0, s[4:5]
	v_mov_b32_e32 v10, s0
	global_store_dwordx2 v[6:7], v[12:13], off
	v_mov_b32_e32 v11, s1
	buffer_wbl2 sc0 sc1
	s_waitcnt vmcnt(0)
	global_atomic_cmpswap_x2 v[4:5], v8, v[10:13], s[2:3] offset:24 sc0 sc1
	s_mov_b64 s[4:5], 0
	s_waitcnt vmcnt(0)
	v_cmp_ne_u64_e32 vcc, v[4:5], v[12:13]
	s_and_b64 exec, exec, vcc
	s_cbranch_execz .LBB6_2118
.LBB6_2117:                             ; =>This Inner Loop Header: Depth=1
	s_sleep 1
	global_store_dwordx2 v[6:7], v[4:5], off
	v_mov_b32_e32 v2, s0
	v_mov_b32_e32 v3, s1
	buffer_wbl2 sc0 sc1
	s_waitcnt vmcnt(0)
	global_atomic_cmpswap_x2 v[2:3], v8, v[2:5], s[2:3] offset:24 sc0 sc1
	s_waitcnt vmcnt(0)
	v_cmp_eq_u64_e32 vcc, v[2:3], v[4:5]
	s_or_b64 s[4:5], vcc, s[4:5]
	v_mov_b64_e32 v[4:5], v[2:3]
	s_andn2_b64 exec, exec, s[4:5]
	s_cbranch_execnz .LBB6_2117
.LBB6_2118:
	s_or_b64 exec, exec, s[6:7]
	s_getpc_b64 s[4:5]
	s_add_u32 s4, s4, .str.28@rel32@lo+4
	s_addc_u32 s5, s5, .str.28@rel32@hi+12
	s_cmp_lg_u64 s[4:5], 0
	s_cbranch_scc0 .LBB6_2211
; %bb.2119:
	s_waitcnt vmcnt(0)
	v_and_b32_e32 v6, -3, v0
	v_mov_b32_e32 v7, v1
	s_mov_b64 s[6:7], 35
	v_mov_b32_e32 v29, 0
	v_mov_b32_e32 v4, 2
	;; [unrolled: 1-line block ×3, first 2 shown]
	s_branch .LBB6_2121
.LBB6_2120:                             ;   in Loop: Header=BB6_2121 Depth=1
	s_or_b64 exec, exec, s[12:13]
	s_sub_u32 s6, s6, s8
	s_subb_u32 s7, s7, s9
	s_add_u32 s4, s4, s8
	s_addc_u32 s5, s5, s9
	s_cmp_lg_u64 s[6:7], 0
	s_cbranch_scc0 .LBB6_2210
.LBB6_2121:                             ; =>This Loop Header: Depth=1
                                        ;     Child Loop BB6_2124 Depth 2
                                        ;     Child Loop BB6_2133 Depth 2
	;; [unrolled: 1-line block ×11, first 2 shown]
	v_cmp_lt_u64_e64 s[0:1], s[6:7], 56
	s_and_b64 s[0:1], s[0:1], exec
	s_cselect_b32 s9, s7, 0
	s_cselect_b32 s8, s6, 56
	v_cmp_gt_u64_e64 s[10:11], s[6:7], 7
	s_add_u32 s0, s4, 8
	s_addc_u32 s1, s5, 0
	s_and_b64 vcc, exec, s[10:11]
	s_cbranch_vccnz .LBB6_2125
; %bb.2122:                             ;   in Loop: Header=BB6_2121 Depth=1
	s_cmp_eq_u64 s[6:7], 0
	s_cbranch_scc1 .LBB6_2126
; %bb.2123:                             ;   in Loop: Header=BB6_2121 Depth=1
	s_lshl_b64 s[0:1], s[8:9], 3
	s_mov_b64 s[10:11], 0
	s_waitcnt vmcnt(0)
	v_mov_b64_e32 v[8:9], 0
	s_mov_b64 s[12:13], s[4:5]
.LBB6_2124:                             ;   Parent Loop BB6_2121 Depth=1
                                        ; =>  This Inner Loop Header: Depth=2
	global_load_ubyte v2, v29, s[12:13]
	s_waitcnt vmcnt(0)
	v_and_b32_e32 v28, 0xffff, v2
	v_lshlrev_b64 v[2:3], s10, v[28:29]
	s_add_u32 s10, s10, 8
	s_addc_u32 s11, s11, 0
	s_add_u32 s12, s12, 1
	s_addc_u32 s13, s13, 0
	v_or_b32_e32 v8, v2, v8
	s_cmp_lg_u32 s0, s10
	v_or_b32_e32 v9, v3, v9
	s_cbranch_scc1 .LBB6_2124
	s_branch .LBB6_2127
.LBB6_2125:                             ;   in Loop: Header=BB6_2121 Depth=1
	s_mov_b64 s[10:11], -1
	s_branch .LBB6_2128
.LBB6_2126:                             ;   in Loop: Header=BB6_2121 Depth=1
	s_waitcnt vmcnt(0)
	v_mov_b64_e32 v[8:9], 0
.LBB6_2127:                             ;   in Loop: Header=BB6_2121 Depth=1
	s_mov_b64 s[10:11], 0
	s_mov_b64 s[0:1], s[4:5]
.LBB6_2128:                             ;   in Loop: Header=BB6_2121 Depth=1
	s_andn2_b64 vcc, exec, s[10:11]
	s_mov_b32 s14, 0
	s_cbranch_vccnz .LBB6_2130
; %bb.2129:                             ;   in Loop: Header=BB6_2121 Depth=1
	global_load_dwordx2 v[8:9], v29, s[4:5]
	s_add_i32 s14, s8, -8
.LBB6_2130:                             ;   in Loop: Header=BB6_2121 Depth=1
	s_add_u32 s10, s0, 8
	s_addc_u32 s11, s1, 0
	s_cmp_gt_u32 s14, 7
	s_cbranch_scc1 .LBB6_2134
; %bb.2131:                             ;   in Loop: Header=BB6_2121 Depth=1
	s_cmp_eq_u32 s14, 0
	s_cbranch_scc1 .LBB6_2135
; %bb.2132:                             ;   in Loop: Header=BB6_2121 Depth=1
	s_mov_b64 s[10:11], 0
	v_mov_b64_e32 v[10:11], 0
	s_mov_b64 s[12:13], 0
.LBB6_2133:                             ;   Parent Loop BB6_2121 Depth=1
                                        ; =>  This Inner Loop Header: Depth=2
	s_add_u32 s16, s0, s12
	s_addc_u32 s17, s1, s13
	global_load_ubyte v2, v29, s[16:17]
	s_add_u32 s12, s12, 1
	s_addc_u32 s13, s13, 0
	s_waitcnt vmcnt(0)
	v_and_b32_e32 v28, 0xffff, v2
	v_lshlrev_b64 v[2:3], s10, v[28:29]
	s_add_u32 s10, s10, 8
	s_addc_u32 s11, s11, 0
	v_or_b32_e32 v10, v2, v10
	s_cmp_lg_u32 s14, s12
	v_or_b32_e32 v11, v3, v11
	s_cbranch_scc1 .LBB6_2133
	s_branch .LBB6_2136
.LBB6_2134:                             ;   in Loop: Header=BB6_2121 Depth=1
	s_mov_b64 s[12:13], -1
                                        ; implicit-def: $vgpr10_vgpr11
	s_branch .LBB6_2137
.LBB6_2135:                             ;   in Loop: Header=BB6_2121 Depth=1
	v_mov_b64_e32 v[10:11], 0
.LBB6_2136:                             ;   in Loop: Header=BB6_2121 Depth=1
	s_mov_b64 s[12:13], 0
	s_mov_b64 s[10:11], s[0:1]
.LBB6_2137:                             ;   in Loop: Header=BB6_2121 Depth=1
	s_andn2_b64 vcc, exec, s[12:13]
	s_mov_b32 s15, 0
	s_cbranch_vccnz .LBB6_2139
; %bb.2138:                             ;   in Loop: Header=BB6_2121 Depth=1
	global_load_dwordx2 v[10:11], v29, s[0:1]
	s_add_i32 s15, s14, -8
.LBB6_2139:                             ;   in Loop: Header=BB6_2121 Depth=1
	s_add_u32 s0, s10, 8
	s_addc_u32 s1, s11, 0
	s_cmp_gt_u32 s15, 7
	s_cbranch_scc1 .LBB6_2143
; %bb.2140:                             ;   in Loop: Header=BB6_2121 Depth=1
	s_cmp_eq_u32 s15, 0
	s_cbranch_scc1 .LBB6_2144
; %bb.2141:                             ;   in Loop: Header=BB6_2121 Depth=1
	s_mov_b64 s[0:1], 0
	v_mov_b64_e32 v[12:13], 0
	s_mov_b64 s[12:13], 0
.LBB6_2142:                             ;   Parent Loop BB6_2121 Depth=1
                                        ; =>  This Inner Loop Header: Depth=2
	s_add_u32 s16, s10, s12
	s_addc_u32 s17, s11, s13
	global_load_ubyte v2, v29, s[16:17]
	s_add_u32 s12, s12, 1
	s_addc_u32 s13, s13, 0
	s_waitcnt vmcnt(0)
	v_and_b32_e32 v28, 0xffff, v2
	v_lshlrev_b64 v[2:3], s0, v[28:29]
	s_add_u32 s0, s0, 8
	s_addc_u32 s1, s1, 0
	v_or_b32_e32 v12, v2, v12
	s_cmp_lg_u32 s15, s12
	v_or_b32_e32 v13, v3, v13
	s_cbranch_scc1 .LBB6_2142
	s_branch .LBB6_2145
.LBB6_2143:                             ;   in Loop: Header=BB6_2121 Depth=1
	s_mov_b64 s[12:13], -1
	s_branch .LBB6_2146
.LBB6_2144:                             ;   in Loop: Header=BB6_2121 Depth=1
	v_mov_b64_e32 v[12:13], 0
.LBB6_2145:                             ;   in Loop: Header=BB6_2121 Depth=1
	s_mov_b64 s[12:13], 0
	s_mov_b64 s[0:1], s[10:11]
.LBB6_2146:                             ;   in Loop: Header=BB6_2121 Depth=1
	s_andn2_b64 vcc, exec, s[12:13]
	s_mov_b32 s14, 0
	s_cbranch_vccnz .LBB6_2148
; %bb.2147:                             ;   in Loop: Header=BB6_2121 Depth=1
	global_load_dwordx2 v[12:13], v29, s[10:11]
	s_add_i32 s14, s15, -8
.LBB6_2148:                             ;   in Loop: Header=BB6_2121 Depth=1
	s_add_u32 s10, s0, 8
	s_addc_u32 s11, s1, 0
	s_cmp_gt_u32 s14, 7
	s_cbranch_scc1 .LBB6_2152
; %bb.2149:                             ;   in Loop: Header=BB6_2121 Depth=1
	s_cmp_eq_u32 s14, 0
	s_cbranch_scc1 .LBB6_2153
; %bb.2150:                             ;   in Loop: Header=BB6_2121 Depth=1
	s_mov_b64 s[10:11], 0
	v_mov_b64_e32 v[14:15], 0
	s_mov_b64 s[12:13], 0
.LBB6_2151:                             ;   Parent Loop BB6_2121 Depth=1
                                        ; =>  This Inner Loop Header: Depth=2
	s_add_u32 s16, s0, s12
	s_addc_u32 s17, s1, s13
	global_load_ubyte v2, v29, s[16:17]
	s_add_u32 s12, s12, 1
	s_addc_u32 s13, s13, 0
	s_waitcnt vmcnt(0)
	v_and_b32_e32 v28, 0xffff, v2
	v_lshlrev_b64 v[2:3], s10, v[28:29]
	s_add_u32 s10, s10, 8
	s_addc_u32 s11, s11, 0
	v_or_b32_e32 v14, v2, v14
	s_cmp_lg_u32 s14, s12
	v_or_b32_e32 v15, v3, v15
	s_cbranch_scc1 .LBB6_2151
	s_branch .LBB6_2154
.LBB6_2152:                             ;   in Loop: Header=BB6_2121 Depth=1
	s_mov_b64 s[12:13], -1
                                        ; implicit-def: $vgpr14_vgpr15
	s_branch .LBB6_2155
.LBB6_2153:                             ;   in Loop: Header=BB6_2121 Depth=1
	v_mov_b64_e32 v[14:15], 0
.LBB6_2154:                             ;   in Loop: Header=BB6_2121 Depth=1
	s_mov_b64 s[12:13], 0
	s_mov_b64 s[10:11], s[0:1]
.LBB6_2155:                             ;   in Loop: Header=BB6_2121 Depth=1
	s_andn2_b64 vcc, exec, s[12:13]
	s_mov_b32 s15, 0
	s_cbranch_vccnz .LBB6_2157
; %bb.2156:                             ;   in Loop: Header=BB6_2121 Depth=1
	global_load_dwordx2 v[14:15], v29, s[0:1]
	s_add_i32 s15, s14, -8
.LBB6_2157:                             ;   in Loop: Header=BB6_2121 Depth=1
	s_add_u32 s0, s10, 8
	s_addc_u32 s1, s11, 0
	s_cmp_gt_u32 s15, 7
	s_cbranch_scc1 .LBB6_2161
; %bb.2158:                             ;   in Loop: Header=BB6_2121 Depth=1
	s_cmp_eq_u32 s15, 0
	s_cbranch_scc1 .LBB6_2162
; %bb.2159:                             ;   in Loop: Header=BB6_2121 Depth=1
	s_mov_b64 s[0:1], 0
	v_mov_b64_e32 v[16:17], 0
	s_mov_b64 s[12:13], 0
.LBB6_2160:                             ;   Parent Loop BB6_2121 Depth=1
                                        ; =>  This Inner Loop Header: Depth=2
	s_add_u32 s16, s10, s12
	s_addc_u32 s17, s11, s13
	global_load_ubyte v2, v29, s[16:17]
	s_add_u32 s12, s12, 1
	s_addc_u32 s13, s13, 0
	s_waitcnt vmcnt(0)
	v_and_b32_e32 v28, 0xffff, v2
	v_lshlrev_b64 v[2:3], s0, v[28:29]
	s_add_u32 s0, s0, 8
	s_addc_u32 s1, s1, 0
	v_or_b32_e32 v16, v2, v16
	s_cmp_lg_u32 s15, s12
	v_or_b32_e32 v17, v3, v17
	s_cbranch_scc1 .LBB6_2160
	s_branch .LBB6_2163
.LBB6_2161:                             ;   in Loop: Header=BB6_2121 Depth=1
	s_mov_b64 s[12:13], -1
	s_branch .LBB6_2164
.LBB6_2162:                             ;   in Loop: Header=BB6_2121 Depth=1
	v_mov_b64_e32 v[16:17], 0
.LBB6_2163:                             ;   in Loop: Header=BB6_2121 Depth=1
	s_mov_b64 s[12:13], 0
	s_mov_b64 s[0:1], s[10:11]
.LBB6_2164:                             ;   in Loop: Header=BB6_2121 Depth=1
	s_andn2_b64 vcc, exec, s[12:13]
	s_mov_b32 s14, 0
	s_cbranch_vccnz .LBB6_2166
; %bb.2165:                             ;   in Loop: Header=BB6_2121 Depth=1
	global_load_dwordx2 v[16:17], v29, s[10:11]
	s_add_i32 s14, s15, -8
.LBB6_2166:                             ;   in Loop: Header=BB6_2121 Depth=1
	s_add_u32 s10, s0, 8
	s_addc_u32 s11, s1, 0
	s_cmp_gt_u32 s14, 7
	s_cbranch_scc1 .LBB6_2170
; %bb.2167:                             ;   in Loop: Header=BB6_2121 Depth=1
	s_cmp_eq_u32 s14, 0
	s_cbranch_scc1 .LBB6_2171
; %bb.2168:                             ;   in Loop: Header=BB6_2121 Depth=1
	s_mov_b64 s[10:11], 0
	v_mov_b64_e32 v[18:19], 0
	s_mov_b64 s[12:13], 0
.LBB6_2169:                             ;   Parent Loop BB6_2121 Depth=1
                                        ; =>  This Inner Loop Header: Depth=2
	s_add_u32 s16, s0, s12
	s_addc_u32 s17, s1, s13
	global_load_ubyte v2, v29, s[16:17]
	s_add_u32 s12, s12, 1
	s_addc_u32 s13, s13, 0
	s_waitcnt vmcnt(0)
	v_and_b32_e32 v28, 0xffff, v2
	v_lshlrev_b64 v[2:3], s10, v[28:29]
	s_add_u32 s10, s10, 8
	s_addc_u32 s11, s11, 0
	v_or_b32_e32 v18, v2, v18
	s_cmp_lg_u32 s14, s12
	v_or_b32_e32 v19, v3, v19
	s_cbranch_scc1 .LBB6_2169
	s_branch .LBB6_2172
.LBB6_2170:                             ;   in Loop: Header=BB6_2121 Depth=1
	s_mov_b64 s[12:13], -1
                                        ; implicit-def: $vgpr18_vgpr19
	s_branch .LBB6_2173
.LBB6_2171:                             ;   in Loop: Header=BB6_2121 Depth=1
	v_mov_b64_e32 v[18:19], 0
.LBB6_2172:                             ;   in Loop: Header=BB6_2121 Depth=1
	s_mov_b64 s[12:13], 0
	s_mov_b64 s[10:11], s[0:1]
.LBB6_2173:                             ;   in Loop: Header=BB6_2121 Depth=1
	s_andn2_b64 vcc, exec, s[12:13]
	s_mov_b32 s15, 0
	s_cbranch_vccnz .LBB6_2175
; %bb.2174:                             ;   in Loop: Header=BB6_2121 Depth=1
	global_load_dwordx2 v[18:19], v29, s[0:1]
	s_add_i32 s15, s14, -8
.LBB6_2175:                             ;   in Loop: Header=BB6_2121 Depth=1
	s_cmp_gt_u32 s15, 7
	s_cbranch_scc1 .LBB6_2179
; %bb.2176:                             ;   in Loop: Header=BB6_2121 Depth=1
	s_cmp_eq_u32 s15, 0
	s_cbranch_scc1 .LBB6_2180
; %bb.2177:                             ;   in Loop: Header=BB6_2121 Depth=1
	s_mov_b64 s[0:1], 0
	v_mov_b64_e32 v[20:21], 0
	s_mov_b64 s[12:13], s[10:11]
.LBB6_2178:                             ;   Parent Loop BB6_2121 Depth=1
                                        ; =>  This Inner Loop Header: Depth=2
	global_load_ubyte v2, v29, s[12:13]
	s_add_i32 s15, s15, -1
	s_waitcnt vmcnt(0)
	v_and_b32_e32 v28, 0xffff, v2
	v_lshlrev_b64 v[2:3], s0, v[28:29]
	s_add_u32 s0, s0, 8
	s_addc_u32 s1, s1, 0
	s_add_u32 s12, s12, 1
	s_addc_u32 s13, s13, 0
	v_or_b32_e32 v20, v2, v20
	s_cmp_lg_u32 s15, 0
	v_or_b32_e32 v21, v3, v21
	s_cbranch_scc1 .LBB6_2178
	s_branch .LBB6_2181
.LBB6_2179:                             ;   in Loop: Header=BB6_2121 Depth=1
	s_mov_b64 s[0:1], -1
	s_branch .LBB6_2182
.LBB6_2180:                             ;   in Loop: Header=BB6_2121 Depth=1
	v_mov_b64_e32 v[20:21], 0
.LBB6_2181:                             ;   in Loop: Header=BB6_2121 Depth=1
	s_mov_b64 s[0:1], 0
.LBB6_2182:                             ;   in Loop: Header=BB6_2121 Depth=1
	s_andn2_b64 vcc, exec, s[0:1]
	s_cbranch_vccnz .LBB6_2184
; %bb.2183:                             ;   in Loop: Header=BB6_2121 Depth=1
	global_load_dwordx2 v[20:21], v29, s[10:11]
.LBB6_2184:                             ;   in Loop: Header=BB6_2121 Depth=1
	v_readfirstlane_b32 s0, v32
	v_mov_b64_e32 v[2:3], 0
	s_nop 0
	v_cmp_eq_u32_e64 s[0:1], s0, v32
	s_and_saveexec_b64 s[10:11], s[0:1]
	s_cbranch_execz .LBB6_2190
; %bb.2185:                             ;   in Loop: Header=BB6_2121 Depth=1
	global_load_dwordx2 v[24:25], v29, s[2:3] offset:24 sc0 sc1
	s_waitcnt vmcnt(0)
	buffer_inv sc0 sc1
	global_load_dwordx2 v[2:3], v29, s[2:3] offset:40
	global_load_dwordx2 v[22:23], v29, s[2:3]
	s_waitcnt vmcnt(1)
	v_and_b32_e32 v2, v2, v24
	v_and_b32_e32 v3, v3, v25
	v_mul_lo_u32 v3, v3, 24
	v_mul_hi_u32 v27, v2, 24
	v_add_u32_e32 v3, v27, v3
	v_mul_lo_u32 v2, v2, 24
	s_waitcnt vmcnt(0)
	v_lshl_add_u64 v[2:3], v[22:23], 0, v[2:3]
	global_load_dwordx2 v[22:23], v[2:3], off sc0 sc1
	s_waitcnt vmcnt(0)
	global_atomic_cmpswap_x2 v[2:3], v29, v[22:25], s[2:3] offset:24 sc0 sc1
	s_waitcnt vmcnt(0)
	buffer_inv sc0 sc1
	v_cmp_ne_u64_e32 vcc, v[2:3], v[24:25]
	s_and_saveexec_b64 s[12:13], vcc
	s_cbranch_execz .LBB6_2189
; %bb.2186:                             ;   in Loop: Header=BB6_2121 Depth=1
	s_mov_b64 s[14:15], 0
.LBB6_2187:                             ;   Parent Loop BB6_2121 Depth=1
                                        ; =>  This Inner Loop Header: Depth=2
	s_sleep 1
	global_load_dwordx2 v[22:23], v29, s[2:3] offset:40
	global_load_dwordx2 v[30:31], v29, s[2:3]
	v_mov_b64_e32 v[24:25], v[2:3]
	s_waitcnt vmcnt(1)
	v_and_b32_e32 v2, v22, v24
	s_waitcnt vmcnt(0)
	v_mad_u64_u32 v[2:3], s[16:17], v2, 24, v[30:31]
	v_and_b32_e32 v23, v23, v25
	v_mov_b32_e32 v22, v3
	v_mad_u64_u32 v[22:23], s[16:17], v23, 24, v[22:23]
	v_mov_b32_e32 v3, v22
	global_load_dwordx2 v[22:23], v[2:3], off sc0 sc1
	s_waitcnt vmcnt(0)
	global_atomic_cmpswap_x2 v[2:3], v29, v[22:25], s[2:3] offset:24 sc0 sc1
	s_waitcnt vmcnt(0)
	buffer_inv sc0 sc1
	v_cmp_eq_u64_e32 vcc, v[2:3], v[24:25]
	s_or_b64 s[14:15], vcc, s[14:15]
	s_andn2_b64 exec, exec, s[14:15]
	s_cbranch_execnz .LBB6_2187
; %bb.2188:                             ;   in Loop: Header=BB6_2121 Depth=1
	s_or_b64 exec, exec, s[14:15]
.LBB6_2189:                             ;   in Loop: Header=BB6_2121 Depth=1
	s_or_b64 exec, exec, s[12:13]
.LBB6_2190:                             ;   in Loop: Header=BB6_2121 Depth=1
	s_or_b64 exec, exec, s[10:11]
	global_load_dwordx2 v[30:31], v29, s[2:3] offset:40
	global_load_dwordx4 v[22:25], v29, s[2:3]
	v_readfirstlane_b32 s11, v3
	v_readfirstlane_b32 s10, v2
	s_mov_b64 s[12:13], exec
	s_waitcnt vmcnt(1)
	v_readfirstlane_b32 s14, v30
	v_readfirstlane_b32 s15, v31
	s_and_b64 s[14:15], s[14:15], s[10:11]
	s_mul_i32 s16, s15, 24
	s_mul_hi_u32 s17, s14, 24
	s_add_i32 s17, s17, s16
	s_mul_i32 s16, s14, 24
	s_waitcnt vmcnt(0)
	v_lshl_add_u64 v[30:31], v[22:23], 0, s[16:17]
	s_and_saveexec_b64 s[16:17], s[0:1]
	s_cbranch_execz .LBB6_2192
; %bb.2191:                             ;   in Loop: Header=BB6_2121 Depth=1
	v_mov_b64_e32 v[2:3], s[12:13]
	global_store_dwordx4 v[30:31], v[2:5], off offset:8
.LBB6_2192:                             ;   in Loop: Header=BB6_2121 Depth=1
	s_or_b64 exec, exec, s[16:17]
	s_lshl_b64 s[12:13], s[14:15], 12
	v_lshl_add_u64 v[2:3], v[24:25], 0, s[12:13]
	v_cmp_gt_u64_e64 s[12:13], s[6:7], 56
	s_and_b64 s[12:13], s[12:13], exec
	s_cselect_b32 s12, 0, 2
	s_lshl_b32 s13, s8, 2
	s_add_i32 s13, s13, 28
	v_and_b32_e32 v6, 0xffffff1f, v6
	s_and_b32 s13, s13, 0x1e0
	v_or_b32_e32 v6, s12, v6
	v_or_b32_e32 v6, s13, v6
	v_readfirstlane_b32 s12, v2
	v_readfirstlane_b32 s13, v3
	s_nop 4
	global_store_dwordx4 v26, v[6:9], s[12:13]
	global_store_dwordx4 v26, v[10:13], s[12:13] offset:16
	global_store_dwordx4 v26, v[14:17], s[12:13] offset:32
	;; [unrolled: 1-line block ×3, first 2 shown]
	s_and_saveexec_b64 s[12:13], s[0:1]
	s_cbranch_execz .LBB6_2200
; %bb.2193:                             ;   in Loop: Header=BB6_2121 Depth=1
	global_load_dwordx2 v[14:15], v29, s[2:3] offset:32 sc0 sc1
	global_load_dwordx2 v[6:7], v29, s[2:3] offset:40
	v_mov_b32_e32 v12, s10
	v_mov_b32_e32 v13, s11
	s_waitcnt vmcnt(0)
	v_readfirstlane_b32 s14, v6
	v_readfirstlane_b32 s15, v7
	s_and_b64 s[14:15], s[14:15], s[10:11]
	s_mul_i32 s15, s15, 24
	s_mul_hi_u32 s16, s14, 24
	s_mul_i32 s14, s14, 24
	s_add_i32 s15, s16, s15
	v_lshl_add_u64 v[10:11], v[22:23], 0, s[14:15]
	global_store_dwordx2 v[10:11], v[14:15], off
	buffer_wbl2 sc0 sc1
	s_waitcnt vmcnt(0)
	global_atomic_cmpswap_x2 v[8:9], v29, v[12:15], s[2:3] offset:32 sc0 sc1
	s_waitcnt vmcnt(0)
	v_cmp_ne_u64_e32 vcc, v[8:9], v[14:15]
	s_and_saveexec_b64 s[14:15], vcc
	s_cbranch_execz .LBB6_2196
; %bb.2194:                             ;   in Loop: Header=BB6_2121 Depth=1
	s_mov_b64 s[16:17], 0
.LBB6_2195:                             ;   Parent Loop BB6_2121 Depth=1
                                        ; =>  This Inner Loop Header: Depth=2
	s_sleep 1
	global_store_dwordx2 v[10:11], v[8:9], off
	v_mov_b32_e32 v6, s10
	v_mov_b32_e32 v7, s11
	buffer_wbl2 sc0 sc1
	s_waitcnt vmcnt(0)
	global_atomic_cmpswap_x2 v[6:7], v29, v[6:9], s[2:3] offset:32 sc0 sc1
	s_waitcnt vmcnt(0)
	v_cmp_eq_u64_e32 vcc, v[6:7], v[8:9]
	s_or_b64 s[16:17], vcc, s[16:17]
	v_mov_b64_e32 v[8:9], v[6:7]
	s_andn2_b64 exec, exec, s[16:17]
	s_cbranch_execnz .LBB6_2195
.LBB6_2196:                             ;   in Loop: Header=BB6_2121 Depth=1
	s_or_b64 exec, exec, s[14:15]
	global_load_dwordx2 v[6:7], v29, s[2:3] offset:16
	s_mov_b64 s[16:17], exec
	v_mbcnt_lo_u32_b32 v8, s16, 0
	v_mbcnt_hi_u32_b32 v8, s17, v8
	v_cmp_eq_u32_e32 vcc, 0, v8
	s_and_saveexec_b64 s[14:15], vcc
	s_cbranch_execz .LBB6_2198
; %bb.2197:                             ;   in Loop: Header=BB6_2121 Depth=1
	s_bcnt1_i32_b64 s16, s[16:17]
	v_mov_b32_e32 v28, s16
	buffer_wbl2 sc0 sc1
	s_waitcnt vmcnt(0)
	global_atomic_add_x2 v[6:7], v[28:29], off offset:8 sc1
.LBB6_2198:                             ;   in Loop: Header=BB6_2121 Depth=1
	s_or_b64 exec, exec, s[14:15]
	s_waitcnt vmcnt(0)
	global_load_dwordx2 v[8:9], v[6:7], off offset:16
	s_waitcnt vmcnt(0)
	v_cmp_eq_u64_e32 vcc, 0, v[8:9]
	s_cbranch_vccnz .LBB6_2200
; %bb.2199:                             ;   in Loop: Header=BB6_2121 Depth=1
	global_load_dword v28, v[6:7], off offset:24
	s_waitcnt vmcnt(0)
	v_readfirstlane_b32 s14, v28
	s_and_b32 m0, s14, 0xffffff
	buffer_wbl2 sc0 sc1
	global_store_dwordx2 v[8:9], v[28:29], off sc0 sc1
	s_sendmsg sendmsg(MSG_INTERRUPT)
.LBB6_2200:                             ;   in Loop: Header=BB6_2121 Depth=1
	s_or_b64 exec, exec, s[12:13]
	v_mov_b32_e32 v27, v29
	v_lshl_add_u64 v[2:3], v[2:3], 0, v[26:27]
	s_branch .LBB6_2204
.LBB6_2201:                             ;   in Loop: Header=BB6_2204 Depth=2
	s_or_b64 exec, exec, s[12:13]
	v_readfirstlane_b32 s12, v6
	s_cmp_eq_u32 s12, 0
	s_cbranch_scc1 .LBB6_2203
; %bb.2202:                             ;   in Loop: Header=BB6_2204 Depth=2
	s_sleep 1
	s_cbranch_execnz .LBB6_2204
	s_branch .LBB6_2206
.LBB6_2203:                             ;   in Loop: Header=BB6_2121 Depth=1
	s_branch .LBB6_2206
.LBB6_2204:                             ;   Parent Loop BB6_2121 Depth=1
                                        ; =>  This Inner Loop Header: Depth=2
	v_mov_b32_e32 v6, 1
	s_and_saveexec_b64 s[12:13], s[0:1]
	s_cbranch_execz .LBB6_2201
; %bb.2205:                             ;   in Loop: Header=BB6_2204 Depth=2
	global_load_dword v6, v[30:31], off offset:20 sc0 sc1
	s_waitcnt vmcnt(0)
	buffer_inv sc0 sc1
	v_and_b32_e32 v6, 1, v6
	s_branch .LBB6_2201
.LBB6_2206:                             ;   in Loop: Header=BB6_2121 Depth=1
	global_load_dwordx4 v[6:9], v[2:3], off
	s_and_saveexec_b64 s[12:13], s[0:1]
	s_cbranch_execz .LBB6_2120
; %bb.2207:                             ;   in Loop: Header=BB6_2121 Depth=1
	global_load_dwordx2 v[2:3], v29, s[2:3] offset:40
	global_load_dwordx2 v[12:13], v29, s[2:3] offset:24 sc0 sc1
	global_load_dwordx2 v[8:9], v29, s[2:3]
	s_waitcnt vmcnt(2)
	v_readfirstlane_b32 s14, v2
	v_readfirstlane_b32 s15, v3
	s_add_u32 s16, s14, 1
	s_addc_u32 s17, s15, 0
	s_add_u32 s0, s16, s10
	s_addc_u32 s1, s17, s11
	s_cmp_eq_u64 s[0:1], 0
	s_cselect_b32 s1, s17, s1
	s_cselect_b32 s0, s16, s0
	s_and_b64 s[10:11], s[0:1], s[14:15]
	s_mul_i32 s11, s11, 24
	s_mul_hi_u32 s14, s10, 24
	s_mul_i32 s10, s10, 24
	s_add_i32 s11, s14, s11
	s_waitcnt vmcnt(0)
	v_lshl_add_u64 v[2:3], v[8:9], 0, s[10:11]
	v_mov_b32_e32 v10, s0
	global_store_dwordx2 v[2:3], v[12:13], off
	v_mov_b32_e32 v11, s1
	buffer_wbl2 sc0 sc1
	s_waitcnt vmcnt(0)
	global_atomic_cmpswap_x2 v[10:11], v29, v[10:13], s[2:3] offset:24 sc0 sc1
	s_waitcnt vmcnt(0)
	v_cmp_ne_u64_e32 vcc, v[10:11], v[12:13]
	s_and_b64 exec, exec, vcc
	s_cbranch_execz .LBB6_2120
; %bb.2208:                             ;   in Loop: Header=BB6_2121 Depth=1
	s_mov_b64 s[10:11], 0
.LBB6_2209:                             ;   Parent Loop BB6_2121 Depth=1
                                        ; =>  This Inner Loop Header: Depth=2
	s_sleep 1
	global_store_dwordx2 v[2:3], v[10:11], off
	v_mov_b32_e32 v8, s0
	v_mov_b32_e32 v9, s1
	buffer_wbl2 sc0 sc1
	s_waitcnt vmcnt(0)
	global_atomic_cmpswap_x2 v[8:9], v29, v[8:11], s[2:3] offset:24 sc0 sc1
	s_waitcnt vmcnt(0)
	v_cmp_eq_u64_e32 vcc, v[8:9], v[10:11]
	s_or_b64 s[10:11], vcc, s[10:11]
	v_mov_b64_e32 v[10:11], v[8:9]
	s_andn2_b64 exec, exec, s[10:11]
	s_cbranch_execnz .LBB6_2209
	s_branch .LBB6_2120
.LBB6_2210:
	s_mov_b64 s[0:1], 0
	s_branch .LBB6_2212
.LBB6_2211:
	s_mov_b64 s[0:1], -1
.LBB6_2212:
	s_and_b64 vcc, exec, s[0:1]
	s_cbranch_vccz .LBB6_2239
; %bb.2213:
	v_readfirstlane_b32 s0, v32
	s_waitcnt vmcnt(0)
	v_mov_b64_e32 v[8:9], 0
	v_cmp_eq_u32_e64 s[0:1], s0, v32
	s_and_saveexec_b64 s[4:5], s[0:1]
	s_cbranch_execz .LBB6_2219
; %bb.2214:
	v_mov_b32_e32 v2, 0
	global_load_dwordx2 v[6:7], v2, s[2:3] offset:24 sc0 sc1
	s_waitcnt vmcnt(0)
	buffer_inv sc0 sc1
	global_load_dwordx2 v[4:5], v2, s[2:3] offset:40
	global_load_dwordx2 v[8:9], v2, s[2:3]
	s_waitcnt vmcnt(1)
	v_and_b32_e32 v3, v4, v6
	v_and_b32_e32 v4, v5, v7
	v_mul_lo_u32 v4, v4, 24
	v_mul_hi_u32 v5, v3, 24
	v_add_u32_e32 v5, v5, v4
	v_mul_lo_u32 v4, v3, 24
	s_waitcnt vmcnt(0)
	v_lshl_add_u64 v[4:5], v[8:9], 0, v[4:5]
	global_load_dwordx2 v[4:5], v[4:5], off sc0 sc1
	s_waitcnt vmcnt(0)
	global_atomic_cmpswap_x2 v[8:9], v2, v[4:7], s[2:3] offset:24 sc0 sc1
	s_waitcnt vmcnt(0)
	buffer_inv sc0 sc1
	v_cmp_ne_u64_e32 vcc, v[8:9], v[6:7]
	s_and_saveexec_b64 s[6:7], vcc
	s_cbranch_execz .LBB6_2218
; %bb.2215:
	s_mov_b64 s[8:9], 0
.LBB6_2216:                             ; =>This Inner Loop Header: Depth=1
	s_sleep 1
	global_load_dwordx2 v[4:5], v2, s[2:3] offset:40
	global_load_dwordx2 v[10:11], v2, s[2:3]
	v_mov_b64_e32 v[6:7], v[8:9]
	s_waitcnt vmcnt(1)
	v_and_b32_e32 v4, v4, v6
	v_and_b32_e32 v3, v5, v7
	s_waitcnt vmcnt(0)
	v_mad_u64_u32 v[4:5], s[10:11], v4, 24, v[10:11]
	v_mov_b32_e32 v8, v5
	v_mad_u64_u32 v[8:9], s[10:11], v3, 24, v[8:9]
	v_mov_b32_e32 v5, v8
	global_load_dwordx2 v[4:5], v[4:5], off sc0 sc1
	s_waitcnt vmcnt(0)
	global_atomic_cmpswap_x2 v[8:9], v2, v[4:7], s[2:3] offset:24 sc0 sc1
	s_waitcnt vmcnt(0)
	buffer_inv sc0 sc1
	v_cmp_eq_u64_e32 vcc, v[8:9], v[6:7]
	s_or_b64 s[8:9], vcc, s[8:9]
	s_andn2_b64 exec, exec, s[8:9]
	s_cbranch_execnz .LBB6_2216
; %bb.2217:
	s_or_b64 exec, exec, s[8:9]
.LBB6_2218:
	s_or_b64 exec, exec, s[6:7]
.LBB6_2219:
	s_or_b64 exec, exec, s[4:5]
	v_mov_b32_e32 v2, 0
	global_load_dwordx2 v[10:11], v2, s[2:3] offset:40
	global_load_dwordx4 v[4:7], v2, s[2:3]
	v_readfirstlane_b32 s5, v9
	v_readfirstlane_b32 s4, v8
	s_mov_b64 s[6:7], exec
	s_waitcnt vmcnt(1)
	v_readfirstlane_b32 s8, v10
	v_readfirstlane_b32 s9, v11
	s_and_b64 s[8:9], s[8:9], s[4:5]
	s_mul_i32 s10, s9, 24
	s_mul_hi_u32 s11, s8, 24
	s_add_i32 s11, s11, s10
	s_mul_i32 s10, s8, 24
	s_waitcnt vmcnt(0)
	v_lshl_add_u64 v[8:9], v[4:5], 0, s[10:11]
	s_and_saveexec_b64 s[10:11], s[0:1]
	s_cbranch_execz .LBB6_2221
; %bb.2220:
	v_mov_b64_e32 v[10:11], s[6:7]
	v_mov_b32_e32 v12, 2
	v_mov_b32_e32 v13, 1
	global_store_dwordx4 v[8:9], v[10:13], off offset:8
.LBB6_2221:
	s_or_b64 exec, exec, s[10:11]
	s_lshl_b64 s[6:7], s[8:9], 12
	v_lshl_add_u64 v[6:7], v[6:7], 0, s[6:7]
	s_movk_i32 s6, 0xff1d
	s_mov_b32 s8, 0
	v_and_or_b32 v0, v0, s6, 34
	v_mov_b32_e32 v3, v2
	v_readfirstlane_b32 s6, v6
	v_readfirstlane_b32 s7, v7
	s_mov_b32 s9, s8
	s_mov_b32 s10, s8
	;; [unrolled: 1-line block ×3, first 2 shown]
	s_nop 1
	global_store_dwordx4 v26, v[0:3], s[6:7]
	s_nop 1
	v_mov_b64_e32 v[0:1], s[8:9]
	v_mov_b64_e32 v[2:3], s[10:11]
	global_store_dwordx4 v26, v[0:3], s[6:7] offset:16
	global_store_dwordx4 v26, v[0:3], s[6:7] offset:32
	;; [unrolled: 1-line block ×3, first 2 shown]
	s_and_saveexec_b64 s[6:7], s[0:1]
	s_cbranch_execz .LBB6_2229
; %bb.2222:
	v_mov_b32_e32 v6, 0
	global_load_dwordx2 v[12:13], v6, s[2:3] offset:32 sc0 sc1
	global_load_dwordx2 v[0:1], v6, s[2:3] offset:40
	v_mov_b32_e32 v10, s4
	v_mov_b32_e32 v11, s5
	s_waitcnt vmcnt(0)
	v_readfirstlane_b32 s8, v0
	v_readfirstlane_b32 s9, v1
	s_and_b64 s[8:9], s[8:9], s[4:5]
	s_mul_i32 s9, s9, 24
	s_mul_hi_u32 s10, s8, 24
	s_mul_i32 s8, s8, 24
	s_add_i32 s9, s10, s9
	v_lshl_add_u64 v[4:5], v[4:5], 0, s[8:9]
	global_store_dwordx2 v[4:5], v[12:13], off
	buffer_wbl2 sc0 sc1
	s_waitcnt vmcnt(0)
	global_atomic_cmpswap_x2 v[2:3], v6, v[10:13], s[2:3] offset:32 sc0 sc1
	s_waitcnt vmcnt(0)
	v_cmp_ne_u64_e32 vcc, v[2:3], v[12:13]
	s_and_saveexec_b64 s[8:9], vcc
	s_cbranch_execz .LBB6_2225
; %bb.2223:
	s_mov_b64 s[10:11], 0
.LBB6_2224:                             ; =>This Inner Loop Header: Depth=1
	s_sleep 1
	global_store_dwordx2 v[4:5], v[2:3], off
	v_mov_b32_e32 v0, s4
	v_mov_b32_e32 v1, s5
	buffer_wbl2 sc0 sc1
	s_waitcnt vmcnt(0)
	global_atomic_cmpswap_x2 v[0:1], v6, v[0:3], s[2:3] offset:32 sc0 sc1
	s_waitcnt vmcnt(0)
	v_cmp_eq_u64_e32 vcc, v[0:1], v[2:3]
	s_or_b64 s[10:11], vcc, s[10:11]
	v_mov_b64_e32 v[2:3], v[0:1]
	s_andn2_b64 exec, exec, s[10:11]
	s_cbranch_execnz .LBB6_2224
.LBB6_2225:
	s_or_b64 exec, exec, s[8:9]
	v_mov_b32_e32 v3, 0
	global_load_dwordx2 v[0:1], v3, s[2:3] offset:16
	s_mov_b64 s[8:9], exec
	v_mbcnt_lo_u32_b32 v2, s8, 0
	v_mbcnt_hi_u32_b32 v2, s9, v2
	v_cmp_eq_u32_e32 vcc, 0, v2
	s_and_saveexec_b64 s[10:11], vcc
	s_cbranch_execz .LBB6_2227
; %bb.2226:
	s_bcnt1_i32_b64 s8, s[8:9]
	v_mov_b32_e32 v2, s8
	buffer_wbl2 sc0 sc1
	s_waitcnt vmcnt(0)
	global_atomic_add_x2 v[0:1], v[2:3], off offset:8 sc1
.LBB6_2227:
	s_or_b64 exec, exec, s[10:11]
	s_waitcnt vmcnt(0)
	global_load_dwordx2 v[2:3], v[0:1], off offset:16
	s_waitcnt vmcnt(0)
	v_cmp_eq_u64_e32 vcc, 0, v[2:3]
	s_cbranch_vccnz .LBB6_2229
; %bb.2228:
	global_load_dword v0, v[0:1], off offset:24
	v_mov_b32_e32 v1, 0
	s_waitcnt vmcnt(0)
	v_readfirstlane_b32 s8, v0
	s_and_b32 m0, s8, 0xffffff
	buffer_wbl2 sc0 sc1
	global_store_dwordx2 v[2:3], v[0:1], off sc0 sc1
	s_sendmsg sendmsg(MSG_INTERRUPT)
.LBB6_2229:
	s_or_b64 exec, exec, s[6:7]
	s_branch .LBB6_2233
.LBB6_2230:                             ;   in Loop: Header=BB6_2233 Depth=1
	s_or_b64 exec, exec, s[6:7]
	v_readfirstlane_b32 s6, v0
	s_cmp_eq_u32 s6, 0
	s_cbranch_scc1 .LBB6_2232
; %bb.2231:                             ;   in Loop: Header=BB6_2233 Depth=1
	s_sleep 1
	s_cbranch_execnz .LBB6_2233
	s_branch .LBB6_2235
.LBB6_2232:
	s_branch .LBB6_2235
.LBB6_2233:                             ; =>This Inner Loop Header: Depth=1
	v_mov_b32_e32 v0, 1
	s_and_saveexec_b64 s[6:7], s[0:1]
	s_cbranch_execz .LBB6_2230
; %bb.2234:                             ;   in Loop: Header=BB6_2233 Depth=1
	global_load_dword v0, v[8:9], off offset:20 sc0 sc1
	s_waitcnt vmcnt(0)
	buffer_inv sc0 sc1
	v_and_b32_e32 v0, 1, v0
	s_branch .LBB6_2230
.LBB6_2235:
	s_and_saveexec_b64 s[6:7], s[0:1]
	s_cbranch_execz .LBB6_2238
; %bb.2236:
	v_mov_b32_e32 v6, 0
	global_load_dwordx2 v[0:1], v6, s[2:3] offset:40
	global_load_dwordx2 v[10:11], v6, s[2:3] offset:24 sc0 sc1
	global_load_dwordx2 v[2:3], v6, s[2:3]
	s_waitcnt vmcnt(2)
	v_readfirstlane_b32 s8, v0
	v_readfirstlane_b32 s9, v1
	s_add_u32 s10, s8, 1
	s_addc_u32 s11, s9, 0
	s_add_u32 s0, s10, s4
	s_addc_u32 s1, s11, s5
	s_cmp_eq_u64 s[0:1], 0
	s_cselect_b32 s1, s11, s1
	s_cselect_b32 s0, s10, s0
	s_and_b64 s[4:5], s[0:1], s[8:9]
	s_mul_i32 s5, s5, 24
	s_mul_hi_u32 s8, s4, 24
	s_mul_i32 s4, s4, 24
	s_add_i32 s5, s8, s5
	s_waitcnt vmcnt(0)
	v_lshl_add_u64 v[4:5], v[2:3], 0, s[4:5]
	v_mov_b32_e32 v8, s0
	global_store_dwordx2 v[4:5], v[10:11], off
	v_mov_b32_e32 v9, s1
	buffer_wbl2 sc0 sc1
	s_waitcnt vmcnt(0)
	global_atomic_cmpswap_x2 v[2:3], v6, v[8:11], s[2:3] offset:24 sc0 sc1
	s_mov_b64 s[4:5], 0
	s_waitcnt vmcnt(0)
	v_cmp_ne_u64_e32 vcc, v[2:3], v[10:11]
	s_and_b64 exec, exec, vcc
	s_cbranch_execz .LBB6_2238
.LBB6_2237:                             ; =>This Inner Loop Header: Depth=1
	s_sleep 1
	global_store_dwordx2 v[4:5], v[2:3], off
	v_mov_b32_e32 v0, s0
	v_mov_b32_e32 v1, s1
	buffer_wbl2 sc0 sc1
	s_waitcnt vmcnt(0)
	global_atomic_cmpswap_x2 v[0:1], v6, v[0:3], s[2:3] offset:24 sc0 sc1
	s_waitcnt vmcnt(0)
	v_cmp_eq_u64_e32 vcc, v[0:1], v[2:3]
	s_or_b64 s[4:5], vcc, s[4:5]
	v_mov_b64_e32 v[2:3], v[0:1]
	s_andn2_b64 exec, exec, s[4:5]
	s_cbranch_execnz .LBB6_2237
.LBB6_2238:
	s_or_b64 exec, exec, s[6:7]
.LBB6_2239:
	s_getpc_b64 s[0:1]
	s_add_u32 s0, s0, .str.29@rel32@lo+4
	s_addc_u32 s1, s1, .str.29@rel32@hi+12
	s_getpc_b64 s[2:3]
	s_add_u32 s2, s2, .str.19@rel32@lo+4
	s_addc_u32 s3, s3, .str.19@rel32@hi+12
	s_getpc_b64 s[4:5]
	s_add_u32 s4, s4, __PRETTY_FUNCTION__._ZN7VecsMemIjLi8192EE5fetchEi@rel32@lo+4
	s_addc_u32 s5, s5, __PRETTY_FUNCTION__._ZN7VecsMemIjLi8192EE5fetchEi@rel32@hi+12
	s_getpc_b64 s[6:7]
	s_add_u32 s6, s6, __assert_fail@rel32@lo+4
	s_addc_u32 s7, s7, __assert_fail@rel32@hi+12
	s_mov_b64 s[8:9], s[64:65]
	s_waitcnt vmcnt(0)
	v_mov_b32_e32 v0, s0
	v_mov_b32_e32 v1, s1
	;; [unrolled: 1-line block ×7, first 2 shown]
	s_swappc_b64 s[30:31], s[6:7]
	s_or_b64 s[0:1], s[84:85], exec
.LBB6_2240:
	s_or_b64 exec, exec, s[72:73]
	s_andn2_b64 s[2:3], s[84:85], exec
	s_and_b64 s[0:1], s[0:1], exec
	s_or_b64 s[10:11], s[2:3], s[0:1]
	s_orn2_b64 s[4:5], s[22:23], exec
.LBB6_2241:
	s_or_b64 exec, exec, s[62:63]
	s_mov_b64 s[0:1], 0
	s_mov_b64 s[2:3], s[46:47]
                                        ; implicit-def: $vgpr41
	s_and_saveexec_b64 s[6:7], s[4:5]
	s_cbranch_execz .LBB6_2466
; %bb.2242:
	v_writelane_b32 v47, s6, 0
	v_cmp_lt_i32_e32 vcc, 0, v70
	s_mov_b64 s[2:3], -1
	v_writelane_b32 v47, s7, 1
	s_mov_b32 s6, 0
	scratch_store_dwordx2 off, v[80:81], s33 offset:96
	s_and_saveexec_b64 s[0:1], vcc
	s_cbranch_execz .LBB6_2250
; %bb.2243:
	v_not_b32_e32 v4, v53
	v_mov_b32_e32 v0, 0
	s_mov_b64 s[2:3], 0
	v_mov_b32_e32 v5, 0
	s_branch .LBB6_2245
.LBB6_2244:                             ;   in Loop: Header=BB6_2245 Depth=1
	s_or_b64 exec, exec, s[4:5]
	v_ashrrev_i32_e32 v1, 31, v0
	v_lshl_add_u64 v[0:1], v[0:1], 2, v[2:3]
	flat_store_dword v[0:1], v6
	flat_load_dword v0, v[54:55] offset:4
	s_add_i32 s6, s6, 1
	v_lshl_add_u64 v[64:65], v[64:65], 0, 4
	s_waitcnt vmcnt(0) lgkmcnt(0)
	v_cmp_ge_i32_e32 vcc, s6, v0
	s_or_b64 s[2:3], vcc, s[2:3]
	v_mov_b32_e32 v0, v7
	s_andn2_b64 exec, exec, s[2:3]
	s_cbranch_execz .LBB6_2249
.LBB6_2245:                             ; =>This Inner Loop Header: Depth=1
	flat_load_dword v6, v[64:65]
                                        ; implicit-def: $vgpr7
	s_waitcnt vmcnt(0) lgkmcnt(0)
	v_and_b32_e32 v1, v6, v53
	v_cmp_ne_u32_e32 vcc, 0, v1
	s_and_saveexec_b64 s[4:5], vcc
	s_xor_b64 s[4:5], exec, s[4:5]
	s_cbranch_execz .LBB6_2247
; %bb.2246:                             ;   in Loop: Header=BB6_2245 Depth=1
	v_and_b32_e32 v6, v6, v4
	v_add_u32_e32 v7, 1, v0
	scratch_store_dword off, v7, s33 offset:76
.LBB6_2247:                             ;   in Loop: Header=BB6_2245 Depth=1
	s_or_saveexec_b64 s[4:5], s[4:5]
	v_mov_b32_e32 v8, v5
	v_mov_b64_e32 v[2:3], v[68:69]
	s_xor_b64 exec, exec, s[4:5]
	s_cbranch_execz .LBB6_2244
; %bb.2248:                             ;   in Loop: Header=BB6_2245 Depth=1
	v_add_u32_e32 v8, 1, v5
	v_mov_b32_e32 v7, v0
	v_mov_b32_e32 v0, v5
	v_mov_b64_e32 v[2:3], v[80:81]
	v_mov_b32_e32 v5, v8
	scratch_store_dword off, v8, s33 offset:92
	s_branch .LBB6_2244
.LBB6_2249:
	s_or_b64 exec, exec, s[2:3]
	v_cmp_eq_u32_e32 vcc, 0, v8
	s_orn2_b64 s[2:3], vcc, exec
.LBB6_2250:
	v_writelane_b32 v47, s10, 2
	s_nop 1
	v_writelane_b32 v47, s11, 3
	v_writelane_b32 v47, s50, 4
	s_nop 1
	v_writelane_b32 v47, s51, 5
	;; [unrolled: 3-line block ×13, first 2 shown]
	s_or_b64 exec, exec, s[0:1]
	flat_load_dword v0, v[66:67] offset:4
	s_xor_b64 s[86:87], s[2:3], -1
	s_getpc_b64 s[0:1]
	s_add_u32 s0, s0, _ZN3sop23sopFactorTrivialCubeRecEjiiPN8subgUtil4SubgILi256EEE@rel32@lo+4
	s_addc_u32 s1, s1, _ZN3sop23sopFactorTrivialCubeRecEjiiPN8subgUtil4SubgILi256EEE@rel32@hi+12
	s_mov_b64 s[8:9], s[64:65]
	v_mov_b32_e32 v1, 0
	v_mov_b32_e32 v2, v44
	;; [unrolled: 1-line block ×4, first 2 shown]
	s_mov_b64 s[96:97], src_private_base
	s_swappc_b64 s[30:31], s[0:1]
	s_getpc_b64 s[0:1]
	s_add_u32 s0, s0, _ZN3sop12sopFactorRecEPNS_3SopEiP7VecsMemIjLi8192EEPN8subgUtil4SubgILi256EEE@rel32@lo+4
	s_addc_u32 s1, s1, _ZN3sop12sopFactorRecEPNS_3SopEiP7VecsMemIjLi8192EEPN8subgUtil4SubgILi256EEE@rel32@hi+12
	s_add_i32 s2, s33, 0x48
	v_mov_b32_e32 v40, v0
	s_mov_b64 s[8:9], s[64:65]
	v_mov_b32_e32 v0, s2
	v_mov_b32_e32 v1, s97
	;; [unrolled: 1-line block ×7, first 2 shown]
	s_swappc_b64 s[30:31], s[0:1]
	flat_load_dword v2, v[42:43]
	v_readlane_b32 s52, v47, 2
	s_movk_i32 s0, 0xff
	v_readlane_b32 s53, v47, 3
	s_mov_b64 s[34:35], s[52:53]
	s_waitcnt vmcnt(0) lgkmcnt(0)
	v_cmp_lt_i32_e32 vcc, s0, v2
	s_and_saveexec_b64 s[0:1], vcc
	s_xor_b64 s[22:23], exec, s[0:1]
	s_cbranch_execz .LBB6_2252
; %bb.2251:
	s_getpc_b64 s[0:1]
	s_add_u32 s0, s0, .str.43@rel32@lo+4
	s_addc_u32 s1, s1, .str.43@rel32@hi+12
	s_getpc_b64 s[2:3]
	s_add_u32 s2, s2, .str.44@rel32@lo+4
	s_addc_u32 s3, s3, .str.44@rel32@hi+12
	s_getpc_b64 s[4:5]
	s_add_u32 s4, s4, __PRETTY_FUNCTION__._ZN8subgUtil4SubgILi256EE10addNodeAndEii@rel32@lo+4
	s_addc_u32 s5, s5, __PRETTY_FUNCTION__._ZN8subgUtil4SubgILi256EE10addNodeAndEii@rel32@hi+12
	s_getpc_b64 s[6:7]
	s_add_u32 s6, s6, __assert_fail@rel32@lo+4
	s_addc_u32 s7, s7, __assert_fail@rel32@hi+12
	s_mov_b64 s[8:9], s[64:65]
	v_mov_b32_e32 v0, s0
	v_mov_b32_e32 v1, s1
	;; [unrolled: 1-line block ×7, first 2 shown]
	s_swappc_b64 s[30:31], s[6:7]
	s_or_b64 s[34:35], s[52:53], exec
                                        ; implicit-def: $vgpr0
                                        ; implicit-def: $vgpr40
                                        ; implicit-def: $vgpr2
                                        ; implicit-def: $vgpr42_vgpr43
                                        ; implicit-def: $vgpr58_vgpr59
                                        ; implicit-def: $vgpr44
.LBB6_2252:
	s_or_saveexec_b64 s[36:37], s[22:23]
	v_readlane_b32 s46, v47, 8
	v_readlane_b32 s47, v47, 9
	;; [unrolled: 1-line block ×13, first 2 shown]
	s_mov_b64 s[0:1], 0
	s_mov_b64 s[2:3], s[46:47]
	v_readlane_b32 s29, v47, 27
	v_readlane_b32 s41, v47, 25
	;; [unrolled: 1-line block ×11, first 2 shown]
                                        ; implicit-def: $vgpr41
	s_xor_b64 exec, exec, s[36:37]
	s_cbranch_execz .LBB6_2465
; %bb.2253:
	v_or_b32_e32 v1, v0, v40
	v_cmp_lt_i32_e32 vcc, -1, v1
	s_mov_b64 s[0:1], -1
	s_mov_b64 s[2:3], s[46:47]
	s_mov_b64 s[4:5], s[34:35]
                                        ; implicit-def: $vgpr41
	s_and_saveexec_b64 s[48:49], vcc
	s_cbranch_execz .LBB6_2464
; %bb.2254:
	v_add_u32_e32 v3, 1, v2
	v_min_i32_e32 v1, v40, v0
	v_max_i32_e32 v0, v40, v0
	flat_store_dword v[42:43], v3
	v_ashrrev_i32_e32 v3, 31, v2
	v_lshlrev_b32_e32 v0, 1, v0
	v_lshl_add_u64 v[4:5], v[2:3], 3, v[42:43]
	v_lshlrev_b32_e32 v41, 1, v2
	s_mov_b64 s[2:3], -1
	s_mov_b64 s[0:1], s[34:35]
	flat_store_dwordx2 v[4:5], v[0:1] offset:8
	s_and_saveexec_b64 s[38:39], s[86:87]
	s_cbranch_execz .LBB6_2461
; %bb.2255:
	s_mov_b64 s[0:1], src_private_base
	s_getpc_b64 s[2:3]
	s_add_u32 s2, s2, _ZN3sop12sopFactorRecEPNS_3SopEiP7VecsMemIjLi8192EEPN8subgUtil4SubgILi256EEE@rel32@lo+4
	s_addc_u32 s3, s3, _ZN3sop12sopFactorRecEPNS_3SopEiP7VecsMemIjLi8192EEPN8subgUtil4SubgILi256EEE@rel32@hi+12
	s_add_i32 s0, s33, 0x58
	s_mov_b64 s[8:9], s[64:65]
	v_mov_b32_e32 v0, s0
	v_mov_b32_e32 v1, s1
	;; [unrolled: 1-line block ×7, first 2 shown]
	s_swappc_b64 s[30:31], s[2:3]
	flat_load_dword v1, v[42:43]
	s_movk_i32 s0, 0xff
	s_mov_b64 s[22:23], s[34:35]
	s_waitcnt vmcnt(0) lgkmcnt(0)
	v_cmp_lt_i32_e32 vcc, s0, v1
	s_and_saveexec_b64 s[0:1], vcc
	s_xor_b64 s[24:25], exec, s[0:1]
	s_cbranch_execz .LBB6_2257
; %bb.2256:
	s_getpc_b64 s[0:1]
	s_add_u32 s0, s0, .str.43@rel32@lo+4
	s_addc_u32 s1, s1, .str.43@rel32@hi+12
	s_getpc_b64 s[2:3]
	s_add_u32 s2, s2, .str.44@rel32@lo+4
	s_addc_u32 s3, s3, .str.44@rel32@hi+12
	s_getpc_b64 s[4:5]
	s_add_u32 s4, s4, __PRETTY_FUNCTION__._ZN8subgUtil4SubgILi256EE9addNodeOrEii@rel32@lo+4
	s_addc_u32 s5, s5, __PRETTY_FUNCTION__._ZN8subgUtil4SubgILi256EE9addNodeOrEii@rel32@hi+12
	s_getpc_b64 s[6:7]
	s_add_u32 s6, s6, __assert_fail@rel32@lo+4
	s_addc_u32 s7, s7, __assert_fail@rel32@hi+12
	s_mov_b64 s[8:9], s[64:65]
	v_mov_b32_e32 v0, s0
	v_mov_b32_e32 v1, s1
	;; [unrolled: 1-line block ×7, first 2 shown]
	s_swappc_b64 s[30:31], s[6:7]
	s_or_b64 s[22:23], s[34:35], exec
                                        ; implicit-def: $vgpr0
                                        ; implicit-def: $vgpr41
                                        ; implicit-def: $vgpr42_vgpr43
.LBB6_2257:
	s_or_saveexec_b64 s[24:25], s[24:25]
	s_mov_b64 s[2:3], 0
	s_xor_b64 exec, exec, s[24:25]
	s_cbranch_execz .LBB6_2460
; %bb.2258:
	v_max_i32_e32 v4, v41, v0
	v_min_i32_e32 v39, v41, v0
	v_xor_b32_e32 v1, 1, v39
	v_xor_b32_e32 v38, 1, v4
	v_cmp_gt_i32_e64 s[0:1], v1, v38
	s_and_saveexec_b64 s[4:5], s[0:1]
	s_cbranch_execz .LBB6_2455
; %bb.2259:
	s_load_dwordx2 s[6:7], s[64:65], 0x50
	v_mbcnt_lo_u32_b32 v2, -1, 0
	v_mbcnt_hi_u32_b32 v5, -1, v2
	v_mov_b64_e32 v[2:3], 0
	v_readfirstlane_b32 s2, v5
	s_nop 1
	v_cmp_eq_u32_e64 s[2:3], s2, v5
	s_and_saveexec_b64 s[8:9], s[2:3]
	s_cbranch_execz .LBB6_2265
; %bb.2260:
	v_mov_b32_e32 v6, 0
	s_waitcnt lgkmcnt(0)
	global_load_dwordx2 v[10:11], v6, s[6:7] offset:24 sc0 sc1
	s_waitcnt vmcnt(0)
	buffer_inv sc0 sc1
	global_load_dwordx2 v[2:3], v6, s[6:7] offset:40
	global_load_dwordx2 v[8:9], v6, s[6:7]
	s_waitcnt vmcnt(1)
	v_and_b32_e32 v2, v2, v10
	v_and_b32_e32 v3, v3, v11
	v_mul_lo_u32 v3, v3, 24
	v_mul_hi_u32 v7, v2, 24
	v_add_u32_e32 v3, v7, v3
	v_mul_lo_u32 v2, v2, 24
	s_waitcnt vmcnt(0)
	v_lshl_add_u64 v[2:3], v[8:9], 0, v[2:3]
	global_load_dwordx2 v[8:9], v[2:3], off sc0 sc1
	s_waitcnt vmcnt(0)
	global_atomic_cmpswap_x2 v[2:3], v6, v[8:11], s[6:7] offset:24 sc0 sc1
	s_waitcnt vmcnt(0)
	buffer_inv sc0 sc1
	v_cmp_ne_u64_e32 vcc, v[2:3], v[10:11]
	s_and_saveexec_b64 s[10:11], vcc
	s_cbranch_execz .LBB6_2264
; %bb.2261:
	s_mov_b64 s[12:13], 0
.LBB6_2262:                             ; =>This Inner Loop Header: Depth=1
	s_sleep 1
	global_load_dwordx2 v[8:9], v6, s[6:7] offset:40
	global_load_dwordx2 v[12:13], v6, s[6:7]
	v_mov_b64_e32 v[10:11], v[2:3]
	s_waitcnt vmcnt(1)
	v_and_b32_e32 v2, v8, v10
	s_waitcnt vmcnt(0)
	v_mad_u64_u32 v[2:3], s[14:15], v2, 24, v[12:13]
	v_and_b32_e32 v7, v9, v11
	v_mov_b32_e32 v8, v3
	v_mad_u64_u32 v[8:9], s[14:15], v7, 24, v[8:9]
	v_mov_b32_e32 v3, v8
	global_load_dwordx2 v[8:9], v[2:3], off sc0 sc1
	s_waitcnt vmcnt(0)
	global_atomic_cmpswap_x2 v[2:3], v6, v[8:11], s[6:7] offset:24 sc0 sc1
	s_waitcnt vmcnt(0)
	buffer_inv sc0 sc1
	v_cmp_eq_u64_e32 vcc, v[2:3], v[10:11]
	s_or_b64 s[12:13], vcc, s[12:13]
	s_andn2_b64 exec, exec, s[12:13]
	s_cbranch_execnz .LBB6_2262
; %bb.2263:
	s_or_b64 exec, exec, s[12:13]
.LBB6_2264:
	s_or_b64 exec, exec, s[10:11]
.LBB6_2265:
	s_or_b64 exec, exec, s[8:9]
	v_mov_b32_e32 v33, 0
	s_waitcnt lgkmcnt(0)
	global_load_dwordx2 v[10:11], v33, s[6:7] offset:40
	global_load_dwordx4 v[6:9], v33, s[6:7]
	v_readfirstlane_b32 s9, v3
	v_readfirstlane_b32 s8, v2
	s_mov_b64 s[10:11], exec
	s_waitcnt vmcnt(1)
	v_readfirstlane_b32 s12, v10
	v_readfirstlane_b32 s13, v11
	s_and_b64 s[12:13], s[12:13], s[8:9]
	s_mul_i32 s14, s13, 24
	s_mul_hi_u32 s15, s12, 24
	s_add_i32 s15, s15, s14
	s_mul_i32 s14, s12, 24
	s_waitcnt vmcnt(0)
	v_lshl_add_u64 v[2:3], v[6:7], 0, s[14:15]
	s_and_saveexec_b64 s[14:15], s[2:3]
	s_cbranch_execz .LBB6_2267
; %bb.2266:
	v_mov_b64_e32 v[10:11], s[10:11]
	v_mov_b32_e32 v12, 2
	v_mov_b32_e32 v13, 1
	global_store_dwordx4 v[2:3], v[10:13], off offset:8
.LBB6_2267:
	s_or_b64 exec, exec, s[14:15]
	s_lshl_b64 s[10:11], s[12:13], 12
	v_lshl_add_u64 v[10:11], v[8:9], 0, s[10:11]
	s_mov_b32 s12, 0
	v_lshlrev_b32_e32 v32, 6, v5
	v_mov_b32_e32 v12, 33
	v_mov_b32_e32 v13, v33
	;; [unrolled: 1-line block ×4, first 2 shown]
	v_readfirstlane_b32 s10, v10
	v_readfirstlane_b32 s11, v11
	s_mov_b32 s13, s12
	s_mov_b32 s14, s12
	;; [unrolled: 1-line block ×3, first 2 shown]
	s_nop 1
	global_store_dwordx4 v32, v[12:15], s[10:11]
	s_nop 1
	v_mov_b64_e32 v[12:13], s[12:13]
	v_mov_b64_e32 v[14:15], s[14:15]
	global_store_dwordx4 v32, v[12:15], s[10:11] offset:16
	global_store_dwordx4 v32, v[12:15], s[10:11] offset:32
	;; [unrolled: 1-line block ×3, first 2 shown]
	s_and_saveexec_b64 s[10:11], s[2:3]
	s_cbranch_execz .LBB6_2275
; %bb.2268:
	v_mov_b32_e32 v14, 0
	global_load_dwordx2 v[18:19], v14, s[6:7] offset:32 sc0 sc1
	global_load_dwordx2 v[8:9], v14, s[6:7] offset:40
	v_mov_b32_e32 v16, s8
	v_mov_b32_e32 v17, s9
	s_waitcnt vmcnt(0)
	v_and_b32_e32 v8, s8, v8
	v_and_b32_e32 v9, s9, v9
	v_mul_lo_u32 v9, v9, 24
	v_mul_hi_u32 v12, v8, 24
	v_mul_lo_u32 v8, v8, 24
	v_add_u32_e32 v9, v12, v9
	v_lshl_add_u64 v[12:13], v[6:7], 0, v[8:9]
	global_store_dwordx2 v[12:13], v[18:19], off
	buffer_wbl2 sc0 sc1
	s_waitcnt vmcnt(0)
	global_atomic_cmpswap_x2 v[8:9], v14, v[16:19], s[6:7] offset:32 sc0 sc1
	s_waitcnt vmcnt(0)
	v_cmp_ne_u64_e32 vcc, v[8:9], v[18:19]
	s_and_saveexec_b64 s[12:13], vcc
	s_cbranch_execz .LBB6_2271
; %bb.2269:
	s_mov_b64 s[14:15], 0
.LBB6_2270:                             ; =>This Inner Loop Header: Depth=1
	s_sleep 1
	global_store_dwordx2 v[12:13], v[8:9], off
	v_mov_b32_e32 v6, s8
	v_mov_b32_e32 v7, s9
	buffer_wbl2 sc0 sc1
	s_waitcnt vmcnt(0)
	global_atomic_cmpswap_x2 v[6:7], v14, v[6:9], s[6:7] offset:32 sc0 sc1
	s_waitcnt vmcnt(0)
	v_cmp_eq_u64_e32 vcc, v[6:7], v[8:9]
	s_or_b64 s[14:15], vcc, s[14:15]
	v_mov_b64_e32 v[8:9], v[6:7]
	s_andn2_b64 exec, exec, s[14:15]
	s_cbranch_execnz .LBB6_2270
.LBB6_2271:
	s_or_b64 exec, exec, s[12:13]
	v_mov_b32_e32 v9, 0
	global_load_dwordx2 v[6:7], v9, s[6:7] offset:16
	s_mov_b64 s[12:13], exec
	v_mbcnt_lo_u32_b32 v8, s12, 0
	v_mbcnt_hi_u32_b32 v8, s13, v8
	v_cmp_eq_u32_e32 vcc, 0, v8
	s_and_saveexec_b64 s[14:15], vcc
	s_cbranch_execz .LBB6_2273
; %bb.2272:
	s_bcnt1_i32_b64 s12, s[12:13]
	v_mov_b32_e32 v8, s12
	buffer_wbl2 sc0 sc1
	s_waitcnt vmcnt(0)
	global_atomic_add_x2 v[6:7], v[8:9], off offset:8 sc1
.LBB6_2273:
	s_or_b64 exec, exec, s[14:15]
	s_waitcnt vmcnt(0)
	global_load_dwordx2 v[8:9], v[6:7], off offset:16
	s_waitcnt vmcnt(0)
	v_cmp_eq_u64_e32 vcc, 0, v[8:9]
	s_cbranch_vccnz .LBB6_2275
; %bb.2274:
	global_load_dword v6, v[6:7], off offset:24
	v_mov_b32_e32 v7, 0
	s_waitcnt vmcnt(0)
	v_readfirstlane_b32 s12, v6
	s_and_b32 m0, s12, 0xffffff
	buffer_wbl2 sc0 sc1
	global_store_dwordx2 v[8:9], v[6:7], off sc0 sc1
	s_sendmsg sendmsg(MSG_INTERRUPT)
.LBB6_2275:
	s_or_b64 exec, exec, s[10:11]
	v_lshl_add_u64 v[6:7], v[10:11], 0, v[32:33]
	s_branch .LBB6_2279
.LBB6_2276:                             ;   in Loop: Header=BB6_2279 Depth=1
	s_or_b64 exec, exec, s[10:11]
	v_readfirstlane_b32 s10, v8
	s_cmp_eq_u32 s10, 0
	s_cbranch_scc1 .LBB6_2278
; %bb.2277:                             ;   in Loop: Header=BB6_2279 Depth=1
	s_sleep 1
	s_cbranch_execnz .LBB6_2279
	s_branch .LBB6_2281
.LBB6_2278:
	s_branch .LBB6_2281
.LBB6_2279:                             ; =>This Inner Loop Header: Depth=1
	v_mov_b32_e32 v8, 1
	s_and_saveexec_b64 s[10:11], s[2:3]
	s_cbranch_execz .LBB6_2276
; %bb.2280:                             ;   in Loop: Header=BB6_2279 Depth=1
	global_load_dword v8, v[2:3], off offset:20 sc0 sc1
	s_waitcnt vmcnt(0)
	buffer_inv sc0 sc1
	v_and_b32_e32 v8, 1, v8
	s_branch .LBB6_2276
.LBB6_2281:
	global_load_dwordx2 v[6:7], v[6:7], off
	s_and_saveexec_b64 s[10:11], s[2:3]
	s_cbranch_execz .LBB6_2284
; %bb.2282:
	v_mov_b32_e32 v12, 0
	global_load_dwordx2 v[2:3], v12, s[6:7] offset:40
	global_load_dwordx2 v[16:17], v12, s[6:7] offset:24 sc0 sc1
	global_load_dwordx2 v[8:9], v12, s[6:7]
	s_waitcnt vmcnt(2)
	v_readfirstlane_b32 s12, v2
	v_readfirstlane_b32 s13, v3
	s_add_u32 s14, s12, 1
	s_addc_u32 s15, s13, 0
	s_add_u32 s2, s14, s8
	s_addc_u32 s3, s15, s9
	s_cmp_eq_u64 s[2:3], 0
	s_cselect_b32 s3, s15, s3
	s_cselect_b32 s2, s14, s2
	s_and_b64 s[8:9], s[2:3], s[12:13]
	s_mul_i32 s9, s9, 24
	s_mul_hi_u32 s12, s8, 24
	s_mul_i32 s8, s8, 24
	s_add_i32 s9, s12, s9
	s_waitcnt vmcnt(0)
	v_lshl_add_u64 v[2:3], v[8:9], 0, s[8:9]
	v_mov_b32_e32 v14, s2
	global_store_dwordx2 v[2:3], v[16:17], off
	v_mov_b32_e32 v15, s3
	buffer_wbl2 sc0 sc1
	s_waitcnt vmcnt(0)
	global_atomic_cmpswap_x2 v[10:11], v12, v[14:17], s[6:7] offset:24 sc0 sc1
	s_mov_b64 s[8:9], 0
	s_waitcnt vmcnt(0)
	v_cmp_ne_u64_e32 vcc, v[10:11], v[16:17]
	s_and_b64 exec, exec, vcc
	s_cbranch_execz .LBB6_2284
.LBB6_2283:                             ; =>This Inner Loop Header: Depth=1
	s_sleep 1
	global_store_dwordx2 v[2:3], v[10:11], off
	v_mov_b32_e32 v8, s2
	v_mov_b32_e32 v9, s3
	buffer_wbl2 sc0 sc1
	s_waitcnt vmcnt(0)
	global_atomic_cmpswap_x2 v[8:9], v12, v[8:11], s[6:7] offset:24 sc0 sc1
	s_waitcnt vmcnt(0)
	v_cmp_eq_u64_e32 vcc, v[8:9], v[10:11]
	s_or_b64 s[8:9], vcc, s[8:9]
	v_mov_b64_e32 v[10:11], v[8:9]
	s_andn2_b64 exec, exec, s[8:9]
	s_cbranch_execnz .LBB6_2283
.LBB6_2284:
	s_or_b64 exec, exec, s[10:11]
	s_getpc_b64 s[8:9]
	s_add_u32 s8, s8, .str.45@rel32@lo+4
	s_addc_u32 s9, s9, .str.45@rel32@hi+12
	s_cmp_lg_u64 s[8:9], 0
	s_cbranch_scc0 .LBB6_2377
; %bb.2285:
	s_waitcnt vmcnt(0)
	v_and_b32_e32 v2, 2, v6
	v_mov_b32_e32 v35, 0
	v_and_b32_e32 v8, -3, v6
	v_mov_b32_e32 v9, v7
	s_mov_b64 s[10:11], 7
	v_mov_b32_e32 v14, 2
	v_mov_b32_e32 v15, 1
	s_branch .LBB6_2287
.LBB6_2286:                             ;   in Loop: Header=BB6_2287 Depth=1
	s_or_b64 exec, exec, s[16:17]
	s_sub_u32 s10, s10, s12
	s_subb_u32 s11, s11, s13
	s_add_u32 s8, s8, s12
	s_addc_u32 s9, s9, s13
	s_cmp_lg_u64 s[10:11], 0
	s_cbranch_scc0 .LBB6_2376
.LBB6_2287:                             ; =>This Loop Header: Depth=1
                                        ;     Child Loop BB6_2290 Depth 2
                                        ;     Child Loop BB6_2299 Depth 2
	;; [unrolled: 1-line block ×11, first 2 shown]
	v_cmp_lt_u64_e64 s[2:3], s[10:11], 56
	s_and_b64 s[2:3], s[2:3], exec
	s_cselect_b32 s13, s11, 0
	s_cselect_b32 s12, s10, 56
	v_cmp_gt_u64_e64 s[14:15], s[10:11], 7
	s_add_u32 s2, s8, 8
	s_addc_u32 s3, s9, 0
	s_and_b64 vcc, exec, s[14:15]
	s_cbranch_vccnz .LBB6_2291
; %bb.2288:                             ;   in Loop: Header=BB6_2287 Depth=1
	s_cmp_eq_u64 s[10:11], 0
	s_cbranch_scc1 .LBB6_2292
; %bb.2289:                             ;   in Loop: Header=BB6_2287 Depth=1
	s_lshl_b64 s[2:3], s[12:13], 3
	s_mov_b64 s[14:15], 0
	v_mov_b64_e32 v[10:11], 0
	s_mov_b64 s[16:17], s[8:9]
.LBB6_2290:                             ;   Parent Loop BB6_2287 Depth=1
                                        ; =>  This Inner Loop Header: Depth=2
	global_load_ubyte v3, v35, s[16:17]
	s_waitcnt vmcnt(0)
	v_and_b32_e32 v34, 0xffff, v3
	v_lshlrev_b64 v[12:13], s14, v[34:35]
	s_add_u32 s14, s14, 8
	s_addc_u32 s15, s15, 0
	s_add_u32 s16, s16, 1
	s_addc_u32 s17, s17, 0
	v_or_b32_e32 v10, v12, v10
	s_cmp_lg_u32 s2, s14
	v_or_b32_e32 v11, v13, v11
	s_cbranch_scc1 .LBB6_2290
	s_branch .LBB6_2293
.LBB6_2291:                             ;   in Loop: Header=BB6_2287 Depth=1
	s_mov_b64 s[14:15], -1
	s_branch .LBB6_2294
.LBB6_2292:                             ;   in Loop: Header=BB6_2287 Depth=1
	v_mov_b64_e32 v[10:11], 0
.LBB6_2293:                             ;   in Loop: Header=BB6_2287 Depth=1
	s_mov_b64 s[14:15], 0
	s_mov_b64 s[2:3], s[8:9]
.LBB6_2294:                             ;   in Loop: Header=BB6_2287 Depth=1
	s_andn2_b64 vcc, exec, s[14:15]
	s_mov_b32 s18, 0
	s_cbranch_vccnz .LBB6_2296
; %bb.2295:                             ;   in Loop: Header=BB6_2287 Depth=1
	global_load_dwordx2 v[10:11], v35, s[8:9]
	s_add_i32 s18, s12, -8
.LBB6_2296:                             ;   in Loop: Header=BB6_2287 Depth=1
	s_add_u32 s14, s2, 8
	s_addc_u32 s15, s3, 0
	s_cmp_gt_u32 s18, 7
	s_cbranch_scc1 .LBB6_2300
; %bb.2297:                             ;   in Loop: Header=BB6_2287 Depth=1
	s_cmp_eq_u32 s18, 0
	s_cbranch_scc1 .LBB6_2301
; %bb.2298:                             ;   in Loop: Header=BB6_2287 Depth=1
	s_mov_b64 s[14:15], 0
	v_mov_b64_e32 v[16:17], 0
	s_mov_b64 s[16:17], 0
.LBB6_2299:                             ;   Parent Loop BB6_2287 Depth=1
                                        ; =>  This Inner Loop Header: Depth=2
	s_add_u32 s20, s2, s16
	s_addc_u32 s21, s3, s17
	global_load_ubyte v3, v35, s[20:21]
	s_add_u32 s16, s16, 1
	s_addc_u32 s17, s17, 0
	s_waitcnt vmcnt(0)
	v_and_b32_e32 v34, 0xffff, v3
	v_lshlrev_b64 v[12:13], s14, v[34:35]
	s_add_u32 s14, s14, 8
	s_addc_u32 s15, s15, 0
	v_or_b32_e32 v16, v12, v16
	s_cmp_lg_u32 s18, s16
	v_or_b32_e32 v17, v13, v17
	s_cbranch_scc1 .LBB6_2299
	s_branch .LBB6_2302
.LBB6_2300:                             ;   in Loop: Header=BB6_2287 Depth=1
	s_mov_b64 s[16:17], -1
                                        ; implicit-def: $vgpr16_vgpr17
	s_branch .LBB6_2303
.LBB6_2301:                             ;   in Loop: Header=BB6_2287 Depth=1
	v_mov_b64_e32 v[16:17], 0
.LBB6_2302:                             ;   in Loop: Header=BB6_2287 Depth=1
	s_mov_b64 s[16:17], 0
	s_mov_b64 s[14:15], s[2:3]
.LBB6_2303:                             ;   in Loop: Header=BB6_2287 Depth=1
	s_andn2_b64 vcc, exec, s[16:17]
	s_mov_b32 s19, 0
	s_cbranch_vccnz .LBB6_2305
; %bb.2304:                             ;   in Loop: Header=BB6_2287 Depth=1
	global_load_dwordx2 v[16:17], v35, s[2:3]
	s_add_i32 s19, s18, -8
.LBB6_2305:                             ;   in Loop: Header=BB6_2287 Depth=1
	s_add_u32 s2, s14, 8
	s_addc_u32 s3, s15, 0
	s_cmp_gt_u32 s19, 7
	s_cbranch_scc1 .LBB6_2309
; %bb.2306:                             ;   in Loop: Header=BB6_2287 Depth=1
	s_cmp_eq_u32 s19, 0
	s_cbranch_scc1 .LBB6_2310
; %bb.2307:                             ;   in Loop: Header=BB6_2287 Depth=1
	s_mov_b64 s[2:3], 0
	v_mov_b64_e32 v[18:19], 0
	s_mov_b64 s[16:17], 0
.LBB6_2308:                             ;   Parent Loop BB6_2287 Depth=1
                                        ; =>  This Inner Loop Header: Depth=2
	s_add_u32 s20, s14, s16
	s_addc_u32 s21, s15, s17
	global_load_ubyte v3, v35, s[20:21]
	s_add_u32 s16, s16, 1
	s_addc_u32 s17, s17, 0
	s_waitcnt vmcnt(0)
	v_and_b32_e32 v34, 0xffff, v3
	v_lshlrev_b64 v[12:13], s2, v[34:35]
	s_add_u32 s2, s2, 8
	s_addc_u32 s3, s3, 0
	v_or_b32_e32 v18, v12, v18
	s_cmp_lg_u32 s19, s16
	v_or_b32_e32 v19, v13, v19
	s_cbranch_scc1 .LBB6_2308
	s_branch .LBB6_2311
.LBB6_2309:                             ;   in Loop: Header=BB6_2287 Depth=1
	s_mov_b64 s[16:17], -1
	s_branch .LBB6_2312
.LBB6_2310:                             ;   in Loop: Header=BB6_2287 Depth=1
	v_mov_b64_e32 v[18:19], 0
.LBB6_2311:                             ;   in Loop: Header=BB6_2287 Depth=1
	s_mov_b64 s[16:17], 0
	s_mov_b64 s[2:3], s[14:15]
.LBB6_2312:                             ;   in Loop: Header=BB6_2287 Depth=1
	s_andn2_b64 vcc, exec, s[16:17]
	s_mov_b32 s18, 0
	s_cbranch_vccnz .LBB6_2314
; %bb.2313:                             ;   in Loop: Header=BB6_2287 Depth=1
	global_load_dwordx2 v[18:19], v35, s[14:15]
	s_add_i32 s18, s19, -8
.LBB6_2314:                             ;   in Loop: Header=BB6_2287 Depth=1
	s_add_u32 s14, s2, 8
	s_addc_u32 s15, s3, 0
	s_cmp_gt_u32 s18, 7
	s_cbranch_scc1 .LBB6_2318
; %bb.2315:                             ;   in Loop: Header=BB6_2287 Depth=1
	s_cmp_eq_u32 s18, 0
	s_cbranch_scc1 .LBB6_2319
; %bb.2316:                             ;   in Loop: Header=BB6_2287 Depth=1
	s_mov_b64 s[14:15], 0
	v_mov_b64_e32 v[20:21], 0
	s_mov_b64 s[16:17], 0
.LBB6_2317:                             ;   Parent Loop BB6_2287 Depth=1
                                        ; =>  This Inner Loop Header: Depth=2
	s_add_u32 s20, s2, s16
	s_addc_u32 s21, s3, s17
	global_load_ubyte v3, v35, s[20:21]
	s_add_u32 s16, s16, 1
	s_addc_u32 s17, s17, 0
	s_waitcnt vmcnt(0)
	v_and_b32_e32 v34, 0xffff, v3
	v_lshlrev_b64 v[12:13], s14, v[34:35]
	s_add_u32 s14, s14, 8
	s_addc_u32 s15, s15, 0
	v_or_b32_e32 v20, v12, v20
	s_cmp_lg_u32 s18, s16
	v_or_b32_e32 v21, v13, v21
	s_cbranch_scc1 .LBB6_2317
	s_branch .LBB6_2320
.LBB6_2318:                             ;   in Loop: Header=BB6_2287 Depth=1
	s_mov_b64 s[16:17], -1
                                        ; implicit-def: $vgpr20_vgpr21
	s_branch .LBB6_2321
.LBB6_2319:                             ;   in Loop: Header=BB6_2287 Depth=1
	v_mov_b64_e32 v[20:21], 0
.LBB6_2320:                             ;   in Loop: Header=BB6_2287 Depth=1
	s_mov_b64 s[16:17], 0
	s_mov_b64 s[14:15], s[2:3]
.LBB6_2321:                             ;   in Loop: Header=BB6_2287 Depth=1
	s_andn2_b64 vcc, exec, s[16:17]
	s_mov_b32 s19, 0
	s_cbranch_vccnz .LBB6_2323
; %bb.2322:                             ;   in Loop: Header=BB6_2287 Depth=1
	global_load_dwordx2 v[20:21], v35, s[2:3]
	s_add_i32 s19, s18, -8
.LBB6_2323:                             ;   in Loop: Header=BB6_2287 Depth=1
	s_add_u32 s2, s14, 8
	s_addc_u32 s3, s15, 0
	s_cmp_gt_u32 s19, 7
	s_cbranch_scc1 .LBB6_2327
; %bb.2324:                             ;   in Loop: Header=BB6_2287 Depth=1
	s_cmp_eq_u32 s19, 0
	s_cbranch_scc1 .LBB6_2328
; %bb.2325:                             ;   in Loop: Header=BB6_2287 Depth=1
	s_mov_b64 s[2:3], 0
	v_mov_b64_e32 v[22:23], 0
	s_mov_b64 s[16:17], 0
.LBB6_2326:                             ;   Parent Loop BB6_2287 Depth=1
                                        ; =>  This Inner Loop Header: Depth=2
	s_add_u32 s20, s14, s16
	s_addc_u32 s21, s15, s17
	global_load_ubyte v3, v35, s[20:21]
	s_add_u32 s16, s16, 1
	s_addc_u32 s17, s17, 0
	s_waitcnt vmcnt(0)
	v_and_b32_e32 v34, 0xffff, v3
	v_lshlrev_b64 v[12:13], s2, v[34:35]
	s_add_u32 s2, s2, 8
	s_addc_u32 s3, s3, 0
	v_or_b32_e32 v22, v12, v22
	s_cmp_lg_u32 s19, s16
	v_or_b32_e32 v23, v13, v23
	s_cbranch_scc1 .LBB6_2326
	s_branch .LBB6_2329
.LBB6_2327:                             ;   in Loop: Header=BB6_2287 Depth=1
	s_mov_b64 s[16:17], -1
	s_branch .LBB6_2330
.LBB6_2328:                             ;   in Loop: Header=BB6_2287 Depth=1
	v_mov_b64_e32 v[22:23], 0
.LBB6_2329:                             ;   in Loop: Header=BB6_2287 Depth=1
	s_mov_b64 s[16:17], 0
	s_mov_b64 s[2:3], s[14:15]
.LBB6_2330:                             ;   in Loop: Header=BB6_2287 Depth=1
	s_andn2_b64 vcc, exec, s[16:17]
	s_mov_b32 s18, 0
	s_cbranch_vccnz .LBB6_2332
; %bb.2331:                             ;   in Loop: Header=BB6_2287 Depth=1
	global_load_dwordx2 v[22:23], v35, s[14:15]
	s_add_i32 s18, s19, -8
.LBB6_2332:                             ;   in Loop: Header=BB6_2287 Depth=1
	s_add_u32 s14, s2, 8
	s_addc_u32 s15, s3, 0
	s_cmp_gt_u32 s18, 7
	s_cbranch_scc1 .LBB6_2336
; %bb.2333:                             ;   in Loop: Header=BB6_2287 Depth=1
	s_cmp_eq_u32 s18, 0
	s_cbranch_scc1 .LBB6_2337
; %bb.2334:                             ;   in Loop: Header=BB6_2287 Depth=1
	s_mov_b64 s[14:15], 0
	v_mov_b64_e32 v[24:25], 0
	s_mov_b64 s[16:17], 0
.LBB6_2335:                             ;   Parent Loop BB6_2287 Depth=1
                                        ; =>  This Inner Loop Header: Depth=2
	s_add_u32 s20, s2, s16
	s_addc_u32 s21, s3, s17
	global_load_ubyte v3, v35, s[20:21]
	s_add_u32 s16, s16, 1
	s_addc_u32 s17, s17, 0
	s_waitcnt vmcnt(0)
	v_and_b32_e32 v34, 0xffff, v3
	v_lshlrev_b64 v[12:13], s14, v[34:35]
	s_add_u32 s14, s14, 8
	s_addc_u32 s15, s15, 0
	v_or_b32_e32 v24, v12, v24
	s_cmp_lg_u32 s18, s16
	v_or_b32_e32 v25, v13, v25
	s_cbranch_scc1 .LBB6_2335
	s_branch .LBB6_2338
.LBB6_2336:                             ;   in Loop: Header=BB6_2287 Depth=1
	s_mov_b64 s[16:17], -1
                                        ; implicit-def: $vgpr24_vgpr25
	s_branch .LBB6_2339
.LBB6_2337:                             ;   in Loop: Header=BB6_2287 Depth=1
	v_mov_b64_e32 v[24:25], 0
.LBB6_2338:                             ;   in Loop: Header=BB6_2287 Depth=1
	s_mov_b64 s[16:17], 0
	s_mov_b64 s[14:15], s[2:3]
.LBB6_2339:                             ;   in Loop: Header=BB6_2287 Depth=1
	s_andn2_b64 vcc, exec, s[16:17]
	s_mov_b32 s19, 0
	s_cbranch_vccnz .LBB6_2341
; %bb.2340:                             ;   in Loop: Header=BB6_2287 Depth=1
	global_load_dwordx2 v[24:25], v35, s[2:3]
	s_add_i32 s19, s18, -8
.LBB6_2341:                             ;   in Loop: Header=BB6_2287 Depth=1
	s_cmp_gt_u32 s19, 7
	s_cbranch_scc1 .LBB6_2345
; %bb.2342:                             ;   in Loop: Header=BB6_2287 Depth=1
	s_cmp_eq_u32 s19, 0
	s_cbranch_scc1 .LBB6_2346
; %bb.2343:                             ;   in Loop: Header=BB6_2287 Depth=1
	s_mov_b64 s[2:3], 0
	v_mov_b64_e32 v[26:27], 0
	s_mov_b64 s[16:17], s[14:15]
.LBB6_2344:                             ;   Parent Loop BB6_2287 Depth=1
                                        ; =>  This Inner Loop Header: Depth=2
	global_load_ubyte v3, v35, s[16:17]
	s_add_i32 s19, s19, -1
	s_waitcnt vmcnt(0)
	v_and_b32_e32 v34, 0xffff, v3
	v_lshlrev_b64 v[12:13], s2, v[34:35]
	s_add_u32 s2, s2, 8
	s_addc_u32 s3, s3, 0
	s_add_u32 s16, s16, 1
	s_addc_u32 s17, s17, 0
	v_or_b32_e32 v26, v12, v26
	s_cmp_lg_u32 s19, 0
	v_or_b32_e32 v27, v13, v27
	s_cbranch_scc1 .LBB6_2344
	s_branch .LBB6_2347
.LBB6_2345:                             ;   in Loop: Header=BB6_2287 Depth=1
	s_mov_b64 s[2:3], -1
	s_branch .LBB6_2348
.LBB6_2346:                             ;   in Loop: Header=BB6_2287 Depth=1
	v_mov_b64_e32 v[26:27], 0
.LBB6_2347:                             ;   in Loop: Header=BB6_2287 Depth=1
	s_mov_b64 s[2:3], 0
.LBB6_2348:                             ;   in Loop: Header=BB6_2287 Depth=1
	s_andn2_b64 vcc, exec, s[2:3]
	s_cbranch_vccnz .LBB6_2350
; %bb.2349:                             ;   in Loop: Header=BB6_2287 Depth=1
	global_load_dwordx2 v[26:27], v35, s[14:15]
.LBB6_2350:                             ;   in Loop: Header=BB6_2287 Depth=1
	v_readfirstlane_b32 s2, v5
	v_mov_b64_e32 v[12:13], 0
	s_nop 0
	v_cmp_eq_u32_e64 s[2:3], s2, v5
	s_and_saveexec_b64 s[14:15], s[2:3]
	s_cbranch_execz .LBB6_2356
; %bb.2351:                             ;   in Loop: Header=BB6_2287 Depth=1
	global_load_dwordx2 v[30:31], v35, s[6:7] offset:24 sc0 sc1
	s_waitcnt vmcnt(0)
	buffer_inv sc0 sc1
	global_load_dwordx2 v[12:13], v35, s[6:7] offset:40
	global_load_dwordx2 v[28:29], v35, s[6:7]
	s_waitcnt vmcnt(1)
	v_and_b32_e32 v3, v12, v30
	v_and_b32_e32 v12, v13, v31
	v_mul_lo_u32 v12, v12, 24
	v_mul_hi_u32 v13, v3, 24
	v_add_u32_e32 v13, v13, v12
	v_mul_lo_u32 v12, v3, 24
	s_waitcnt vmcnt(0)
	v_lshl_add_u64 v[12:13], v[28:29], 0, v[12:13]
	global_load_dwordx2 v[28:29], v[12:13], off sc0 sc1
	s_waitcnt vmcnt(0)
	global_atomic_cmpswap_x2 v[12:13], v35, v[28:31], s[6:7] offset:24 sc0 sc1
	s_waitcnt vmcnt(0)
	buffer_inv sc0 sc1
	v_cmp_ne_u64_e32 vcc, v[12:13], v[30:31]
	s_and_saveexec_b64 s[16:17], vcc
	s_cbranch_execz .LBB6_2355
; %bb.2352:                             ;   in Loop: Header=BB6_2287 Depth=1
	s_mov_b64 s[18:19], 0
.LBB6_2353:                             ;   Parent Loop BB6_2287 Depth=1
                                        ; =>  This Inner Loop Header: Depth=2
	s_sleep 1
	global_load_dwordx2 v[28:29], v35, s[6:7] offset:40
	global_load_dwordx2 v[36:37], v35, s[6:7]
	v_mov_b64_e32 v[30:31], v[12:13]
	s_waitcnt vmcnt(1)
	v_and_b32_e32 v12, v28, v30
	s_waitcnt vmcnt(0)
	v_mad_u64_u32 v[12:13], s[20:21], v12, 24, v[36:37]
	v_and_b32_e32 v3, v29, v31
	v_mov_b32_e32 v28, v13
	v_mad_u64_u32 v[28:29], s[20:21], v3, 24, v[28:29]
	v_mov_b32_e32 v13, v28
	global_load_dwordx2 v[28:29], v[12:13], off sc0 sc1
	s_waitcnt vmcnt(0)
	global_atomic_cmpswap_x2 v[12:13], v35, v[28:31], s[6:7] offset:24 sc0 sc1
	s_waitcnt vmcnt(0)
	buffer_inv sc0 sc1
	v_cmp_eq_u64_e32 vcc, v[12:13], v[30:31]
	s_or_b64 s[18:19], vcc, s[18:19]
	s_andn2_b64 exec, exec, s[18:19]
	s_cbranch_execnz .LBB6_2353
; %bb.2354:                             ;   in Loop: Header=BB6_2287 Depth=1
	s_or_b64 exec, exec, s[18:19]
.LBB6_2355:                             ;   in Loop: Header=BB6_2287 Depth=1
	s_or_b64 exec, exec, s[16:17]
.LBB6_2356:                             ;   in Loop: Header=BB6_2287 Depth=1
	s_or_b64 exec, exec, s[14:15]
	global_load_dwordx2 v[36:37], v35, s[6:7] offset:40
	global_load_dwordx4 v[28:31], v35, s[6:7]
	v_readfirstlane_b32 s15, v13
	v_readfirstlane_b32 s14, v12
	s_mov_b64 s[16:17], exec
	s_waitcnt vmcnt(1)
	v_readfirstlane_b32 s18, v36
	v_readfirstlane_b32 s19, v37
	s_and_b64 s[18:19], s[18:19], s[14:15]
	s_mul_i32 s20, s19, 24
	s_mul_hi_u32 s21, s18, 24
	s_add_i32 s21, s21, s20
	s_mul_i32 s20, s18, 24
	s_waitcnt vmcnt(0)
	v_lshl_add_u64 v[36:37], v[28:29], 0, s[20:21]
	s_and_saveexec_b64 s[20:21], s[2:3]
	s_cbranch_execz .LBB6_2358
; %bb.2357:                             ;   in Loop: Header=BB6_2287 Depth=1
	v_mov_b64_e32 v[12:13], s[16:17]
	global_store_dwordx4 v[36:37], v[12:15], off offset:8
.LBB6_2358:                             ;   in Loop: Header=BB6_2287 Depth=1
	s_or_b64 exec, exec, s[20:21]
	s_lshl_b64 s[16:17], s[18:19], 12
	v_lshl_add_u64 v[12:13], v[30:31], 0, s[16:17]
	v_cmp_lt_u64_e64 vcc, s[10:11], 57
	s_lshl_b32 s16, s12, 2
	s_add_i32 s16, s16, 28
	v_cndmask_b32_e32 v3, 0, v2, vcc
	v_and_b32_e32 v8, 0xffffff1f, v8
	s_and_b32 s16, s16, 0x1e0
	v_or_b32_e32 v3, v8, v3
	v_or_b32_e32 v8, s16, v3
	v_readfirstlane_b32 s16, v12
	v_readfirstlane_b32 s17, v13
	s_nop 4
	global_store_dwordx4 v32, v[8:11], s[16:17]
	global_store_dwordx4 v32, v[16:19], s[16:17] offset:16
	global_store_dwordx4 v32, v[20:23], s[16:17] offset:32
	;; [unrolled: 1-line block ×3, first 2 shown]
	s_and_saveexec_b64 s[16:17], s[2:3]
	s_cbranch_execz .LBB6_2366
; %bb.2359:                             ;   in Loop: Header=BB6_2287 Depth=1
	global_load_dwordx2 v[20:21], v35, s[6:7] offset:32 sc0 sc1
	global_load_dwordx2 v[8:9], v35, s[6:7] offset:40
	v_mov_b32_e32 v18, s14
	v_mov_b32_e32 v19, s15
	s_waitcnt vmcnt(0)
	v_readfirstlane_b32 s18, v8
	v_readfirstlane_b32 s19, v9
	s_and_b64 s[18:19], s[18:19], s[14:15]
	s_mul_i32 s19, s19, 24
	s_mul_hi_u32 s20, s18, 24
	s_mul_i32 s18, s18, 24
	s_add_i32 s19, s20, s19
	v_lshl_add_u64 v[16:17], v[28:29], 0, s[18:19]
	global_store_dwordx2 v[16:17], v[20:21], off
	buffer_wbl2 sc0 sc1
	s_waitcnt vmcnt(0)
	global_atomic_cmpswap_x2 v[10:11], v35, v[18:21], s[6:7] offset:32 sc0 sc1
	s_waitcnt vmcnt(0)
	v_cmp_ne_u64_e32 vcc, v[10:11], v[20:21]
	s_and_saveexec_b64 s[18:19], vcc
	s_cbranch_execz .LBB6_2362
; %bb.2360:                             ;   in Loop: Header=BB6_2287 Depth=1
	s_mov_b64 s[20:21], 0
.LBB6_2361:                             ;   Parent Loop BB6_2287 Depth=1
                                        ; =>  This Inner Loop Header: Depth=2
	s_sleep 1
	global_store_dwordx2 v[16:17], v[10:11], off
	v_mov_b32_e32 v8, s14
	v_mov_b32_e32 v9, s15
	buffer_wbl2 sc0 sc1
	s_waitcnt vmcnt(0)
	global_atomic_cmpswap_x2 v[8:9], v35, v[8:11], s[6:7] offset:32 sc0 sc1
	s_waitcnt vmcnt(0)
	v_cmp_eq_u64_e32 vcc, v[8:9], v[10:11]
	s_or_b64 s[20:21], vcc, s[20:21]
	v_mov_b64_e32 v[10:11], v[8:9]
	s_andn2_b64 exec, exec, s[20:21]
	s_cbranch_execnz .LBB6_2361
.LBB6_2362:                             ;   in Loop: Header=BB6_2287 Depth=1
	s_or_b64 exec, exec, s[18:19]
	global_load_dwordx2 v[8:9], v35, s[6:7] offset:16
	s_mov_b64 s[20:21], exec
	v_mbcnt_lo_u32_b32 v3, s20, 0
	v_mbcnt_hi_u32_b32 v3, s21, v3
	v_cmp_eq_u32_e32 vcc, 0, v3
	s_and_saveexec_b64 s[18:19], vcc
	s_cbranch_execz .LBB6_2364
; %bb.2363:                             ;   in Loop: Header=BB6_2287 Depth=1
	s_bcnt1_i32_b64 s20, s[20:21]
	v_mov_b32_e32 v34, s20
	buffer_wbl2 sc0 sc1
	s_waitcnt vmcnt(0)
	global_atomic_add_x2 v[8:9], v[34:35], off offset:8 sc1
.LBB6_2364:                             ;   in Loop: Header=BB6_2287 Depth=1
	s_or_b64 exec, exec, s[18:19]
	s_waitcnt vmcnt(0)
	global_load_dwordx2 v[10:11], v[8:9], off offset:16
	s_waitcnt vmcnt(0)
	v_cmp_eq_u64_e32 vcc, 0, v[10:11]
	s_cbranch_vccnz .LBB6_2366
; %bb.2365:                             ;   in Loop: Header=BB6_2287 Depth=1
	global_load_dword v34, v[8:9], off offset:24
	s_waitcnt vmcnt(0)
	v_readfirstlane_b32 s18, v34
	s_and_b32 m0, s18, 0xffffff
	buffer_wbl2 sc0 sc1
	global_store_dwordx2 v[10:11], v[34:35], off sc0 sc1
	s_sendmsg sendmsg(MSG_INTERRUPT)
.LBB6_2366:                             ;   in Loop: Header=BB6_2287 Depth=1
	s_or_b64 exec, exec, s[16:17]
	v_mov_b32_e32 v33, v35
	v_lshl_add_u64 v[8:9], v[12:13], 0, v[32:33]
	s_branch .LBB6_2370
.LBB6_2367:                             ;   in Loop: Header=BB6_2370 Depth=2
	s_or_b64 exec, exec, s[16:17]
	v_readfirstlane_b32 s16, v3
	s_cmp_eq_u32 s16, 0
	s_cbranch_scc1 .LBB6_2369
; %bb.2368:                             ;   in Loop: Header=BB6_2370 Depth=2
	s_sleep 1
	s_cbranch_execnz .LBB6_2370
	s_branch .LBB6_2372
.LBB6_2369:                             ;   in Loop: Header=BB6_2287 Depth=1
	s_branch .LBB6_2372
.LBB6_2370:                             ;   Parent Loop BB6_2287 Depth=1
                                        ; =>  This Inner Loop Header: Depth=2
	v_mov_b32_e32 v3, 1
	s_and_saveexec_b64 s[16:17], s[2:3]
	s_cbranch_execz .LBB6_2367
; %bb.2371:                             ;   in Loop: Header=BB6_2370 Depth=2
	global_load_dword v3, v[36:37], off offset:20 sc0 sc1
	s_waitcnt vmcnt(0)
	buffer_inv sc0 sc1
	v_and_b32_e32 v3, 1, v3
	s_branch .LBB6_2367
.LBB6_2372:                             ;   in Loop: Header=BB6_2287 Depth=1
	global_load_dwordx2 v[8:9], v[8:9], off
	s_and_saveexec_b64 s[16:17], s[2:3]
	s_cbranch_execz .LBB6_2286
; %bb.2373:                             ;   in Loop: Header=BB6_2287 Depth=1
	global_load_dwordx2 v[10:11], v35, s[6:7] offset:40
	global_load_dwordx2 v[20:21], v35, s[6:7] offset:24 sc0 sc1
	global_load_dwordx2 v[12:13], v35, s[6:7]
	s_waitcnt vmcnt(2)
	v_readfirstlane_b32 s18, v10
	v_readfirstlane_b32 s19, v11
	s_add_u32 s20, s18, 1
	s_addc_u32 s21, s19, 0
	s_add_u32 s2, s20, s14
	s_addc_u32 s3, s21, s15
	s_cmp_eq_u64 s[2:3], 0
	s_cselect_b32 s3, s21, s3
	s_cselect_b32 s2, s20, s2
	s_and_b64 s[14:15], s[2:3], s[18:19]
	s_mul_i32 s15, s15, 24
	s_mul_hi_u32 s18, s14, 24
	s_mul_i32 s14, s14, 24
	s_add_i32 s15, s18, s15
	s_waitcnt vmcnt(0)
	v_lshl_add_u64 v[16:17], v[12:13], 0, s[14:15]
	v_mov_b32_e32 v18, s2
	global_store_dwordx2 v[16:17], v[20:21], off
	v_mov_b32_e32 v19, s3
	buffer_wbl2 sc0 sc1
	s_waitcnt vmcnt(0)
	global_atomic_cmpswap_x2 v[12:13], v35, v[18:21], s[6:7] offset:24 sc0 sc1
	s_waitcnt vmcnt(0)
	v_cmp_ne_u64_e32 vcc, v[12:13], v[20:21]
	s_and_b64 exec, exec, vcc
	s_cbranch_execz .LBB6_2286
; %bb.2374:                             ;   in Loop: Header=BB6_2287 Depth=1
	s_mov_b64 s[14:15], 0
.LBB6_2375:                             ;   Parent Loop BB6_2287 Depth=1
                                        ; =>  This Inner Loop Header: Depth=2
	s_sleep 1
	global_store_dwordx2 v[16:17], v[12:13], off
	v_mov_b32_e32 v10, s2
	v_mov_b32_e32 v11, s3
	buffer_wbl2 sc0 sc1
	s_waitcnt vmcnt(0)
	global_atomic_cmpswap_x2 v[10:11], v35, v[10:13], s[6:7] offset:24 sc0 sc1
	s_waitcnt vmcnt(0)
	v_cmp_eq_u64_e32 vcc, v[10:11], v[12:13]
	s_or_b64 s[14:15], vcc, s[14:15]
	v_mov_b64_e32 v[12:13], v[10:11]
	s_andn2_b64 exec, exec, s[14:15]
	s_cbranch_execnz .LBB6_2375
	s_branch .LBB6_2286
.LBB6_2376:
	s_mov_b64 s[2:3], 0
	s_branch .LBB6_2378
.LBB6_2377:
	s_mov_b64 s[2:3], -1
                                        ; implicit-def: $vgpr8_vgpr9
.LBB6_2378:
	s_and_b64 vcc, exec, s[2:3]
	s_cbranch_vccz .LBB6_2405
; %bb.2379:
	v_readfirstlane_b32 s2, v5
	v_mov_b64_e32 v[2:3], 0
	s_nop 0
	v_cmp_eq_u32_e64 s[2:3], s2, v5
	s_and_saveexec_b64 s[8:9], s[2:3]
	s_cbranch_execz .LBB6_2385
; %bb.2380:
	s_waitcnt vmcnt(0)
	v_mov_b32_e32 v8, 0
	global_load_dwordx2 v[12:13], v8, s[6:7] offset:24 sc0 sc1
	s_waitcnt vmcnt(0)
	buffer_inv sc0 sc1
	global_load_dwordx2 v[2:3], v8, s[6:7] offset:40
	global_load_dwordx2 v[10:11], v8, s[6:7]
	s_waitcnt vmcnt(1)
	v_and_b32_e32 v2, v2, v12
	v_and_b32_e32 v3, v3, v13
	v_mul_lo_u32 v3, v3, 24
	v_mul_hi_u32 v9, v2, 24
	v_add_u32_e32 v3, v9, v3
	v_mul_lo_u32 v2, v2, 24
	s_waitcnt vmcnt(0)
	v_lshl_add_u64 v[2:3], v[10:11], 0, v[2:3]
	global_load_dwordx2 v[10:11], v[2:3], off sc0 sc1
	s_waitcnt vmcnt(0)
	global_atomic_cmpswap_x2 v[2:3], v8, v[10:13], s[6:7] offset:24 sc0 sc1
	s_waitcnt vmcnt(0)
	buffer_inv sc0 sc1
	v_cmp_ne_u64_e32 vcc, v[2:3], v[12:13]
	s_and_saveexec_b64 s[10:11], vcc
	s_cbranch_execz .LBB6_2384
; %bb.2381:
	s_mov_b64 s[12:13], 0
.LBB6_2382:                             ; =>This Inner Loop Header: Depth=1
	s_sleep 1
	global_load_dwordx2 v[10:11], v8, s[6:7] offset:40
	global_load_dwordx2 v[14:15], v8, s[6:7]
	v_mov_b64_e32 v[12:13], v[2:3]
	s_waitcnt vmcnt(1)
	v_and_b32_e32 v2, v10, v12
	s_waitcnt vmcnt(0)
	v_mad_u64_u32 v[2:3], s[14:15], v2, 24, v[14:15]
	v_and_b32_e32 v9, v11, v13
	v_mov_b32_e32 v10, v3
	v_mad_u64_u32 v[10:11], s[14:15], v9, 24, v[10:11]
	v_mov_b32_e32 v3, v10
	global_load_dwordx2 v[10:11], v[2:3], off sc0 sc1
	s_waitcnt vmcnt(0)
	global_atomic_cmpswap_x2 v[2:3], v8, v[10:13], s[6:7] offset:24 sc0 sc1
	s_waitcnt vmcnt(0)
	buffer_inv sc0 sc1
	v_cmp_eq_u64_e32 vcc, v[2:3], v[12:13]
	s_or_b64 s[12:13], vcc, s[12:13]
	s_andn2_b64 exec, exec, s[12:13]
	s_cbranch_execnz .LBB6_2382
; %bb.2383:
	s_or_b64 exec, exec, s[12:13]
.LBB6_2384:
	s_or_b64 exec, exec, s[10:11]
.LBB6_2385:
	s_or_b64 exec, exec, s[8:9]
	v_mov_b32_e32 v33, 0
	global_load_dwordx2 v[8:9], v33, s[6:7] offset:40
	global_load_dwordx4 v[10:13], v33, s[6:7]
	v_readfirstlane_b32 s9, v3
	v_readfirstlane_b32 s8, v2
	s_mov_b64 s[10:11], exec
	s_waitcnt vmcnt(1)
	v_readfirstlane_b32 s12, v8
	v_readfirstlane_b32 s13, v9
	s_and_b64 s[12:13], s[12:13], s[8:9]
	s_mul_i32 s14, s13, 24
	s_mul_hi_u32 s15, s12, 24
	s_add_i32 s15, s15, s14
	s_mul_i32 s14, s12, 24
	s_waitcnt vmcnt(0)
	v_lshl_add_u64 v[2:3], v[10:11], 0, s[14:15]
	s_and_saveexec_b64 s[14:15], s[2:3]
	s_cbranch_execz .LBB6_2387
; %bb.2386:
	v_mov_b64_e32 v[14:15], s[10:11]
	v_mov_b32_e32 v16, 2
	v_mov_b32_e32 v17, 1
	global_store_dwordx4 v[2:3], v[14:17], off offset:8
.LBB6_2387:
	s_or_b64 exec, exec, s[14:15]
	s_lshl_b64 s[10:11], s[12:13], 12
	v_lshl_add_u64 v[12:13], v[12:13], 0, s[10:11]
	s_movk_i32 s10, 0xff1f
	s_mov_b32 s12, 0
	v_and_or_b32 v6, v6, s10, 32
	v_mov_b32_e32 v8, v33
	v_mov_b32_e32 v9, v33
	v_readfirstlane_b32 s10, v12
	v_readfirstlane_b32 s11, v13
	s_mov_b32 s13, s12
	s_mov_b32 s14, s12
	;; [unrolled: 1-line block ×3, first 2 shown]
	s_nop 1
	global_store_dwordx4 v32, v[6:9], s[10:11]
	s_nop 1
	v_mov_b64_e32 v[6:7], s[12:13]
	v_mov_b64_e32 v[8:9], s[14:15]
	global_store_dwordx4 v32, v[6:9], s[10:11] offset:16
	global_store_dwordx4 v32, v[6:9], s[10:11] offset:32
	;; [unrolled: 1-line block ×3, first 2 shown]
	s_and_saveexec_b64 s[10:11], s[2:3]
	s_cbranch_execz .LBB6_2395
; %bb.2388:
	v_mov_b32_e32 v14, 0
	global_load_dwordx2 v[18:19], v14, s[6:7] offset:32 sc0 sc1
	global_load_dwordx2 v[6:7], v14, s[6:7] offset:40
	v_mov_b32_e32 v16, s8
	v_mov_b32_e32 v17, s9
	s_waitcnt vmcnt(0)
	v_readfirstlane_b32 s12, v6
	v_readfirstlane_b32 s13, v7
	s_and_b64 s[12:13], s[12:13], s[8:9]
	s_mul_i32 s13, s13, 24
	s_mul_hi_u32 s14, s12, 24
	s_mul_i32 s12, s12, 24
	s_add_i32 s13, s14, s13
	v_lshl_add_u64 v[10:11], v[10:11], 0, s[12:13]
	global_store_dwordx2 v[10:11], v[18:19], off
	buffer_wbl2 sc0 sc1
	s_waitcnt vmcnt(0)
	global_atomic_cmpswap_x2 v[8:9], v14, v[16:19], s[6:7] offset:32 sc0 sc1
	s_waitcnt vmcnt(0)
	v_cmp_ne_u64_e32 vcc, v[8:9], v[18:19]
	s_and_saveexec_b64 s[12:13], vcc
	s_cbranch_execz .LBB6_2391
; %bb.2389:
	s_mov_b64 s[14:15], 0
.LBB6_2390:                             ; =>This Inner Loop Header: Depth=1
	s_sleep 1
	global_store_dwordx2 v[10:11], v[8:9], off
	v_mov_b32_e32 v6, s8
	v_mov_b32_e32 v7, s9
	buffer_wbl2 sc0 sc1
	s_waitcnt vmcnt(0)
	global_atomic_cmpswap_x2 v[6:7], v14, v[6:9], s[6:7] offset:32 sc0 sc1
	s_waitcnt vmcnt(0)
	v_cmp_eq_u64_e32 vcc, v[6:7], v[8:9]
	s_or_b64 s[14:15], vcc, s[14:15]
	v_mov_b64_e32 v[8:9], v[6:7]
	s_andn2_b64 exec, exec, s[14:15]
	s_cbranch_execnz .LBB6_2390
.LBB6_2391:
	s_or_b64 exec, exec, s[12:13]
	v_mov_b32_e32 v9, 0
	global_load_dwordx2 v[6:7], v9, s[6:7] offset:16
	s_mov_b64 s[12:13], exec
	v_mbcnt_lo_u32_b32 v8, s12, 0
	v_mbcnt_hi_u32_b32 v8, s13, v8
	v_cmp_eq_u32_e32 vcc, 0, v8
	s_and_saveexec_b64 s[14:15], vcc
	s_cbranch_execz .LBB6_2393
; %bb.2392:
	s_bcnt1_i32_b64 s12, s[12:13]
	v_mov_b32_e32 v8, s12
	buffer_wbl2 sc0 sc1
	s_waitcnt vmcnt(0)
	global_atomic_add_x2 v[6:7], v[8:9], off offset:8 sc1
.LBB6_2393:
	s_or_b64 exec, exec, s[14:15]
	s_waitcnt vmcnt(0)
	global_load_dwordx2 v[8:9], v[6:7], off offset:16
	s_waitcnt vmcnt(0)
	v_cmp_eq_u64_e32 vcc, 0, v[8:9]
	s_cbranch_vccnz .LBB6_2395
; %bb.2394:
	global_load_dword v6, v[6:7], off offset:24
	v_mov_b32_e32 v7, 0
	s_waitcnt vmcnt(0)
	v_readfirstlane_b32 s12, v6
	s_and_b32 m0, s12, 0xffffff
	buffer_wbl2 sc0 sc1
	global_store_dwordx2 v[8:9], v[6:7], off sc0 sc1
	s_sendmsg sendmsg(MSG_INTERRUPT)
.LBB6_2395:
	s_or_b64 exec, exec, s[10:11]
	v_lshl_add_u64 v[6:7], v[12:13], 0, v[32:33]
	s_branch .LBB6_2399
.LBB6_2396:                             ;   in Loop: Header=BB6_2399 Depth=1
	s_or_b64 exec, exec, s[10:11]
	v_readfirstlane_b32 s10, v8
	s_cmp_eq_u32 s10, 0
	s_cbranch_scc1 .LBB6_2398
; %bb.2397:                             ;   in Loop: Header=BB6_2399 Depth=1
	s_sleep 1
	s_cbranch_execnz .LBB6_2399
	s_branch .LBB6_2401
.LBB6_2398:
	s_branch .LBB6_2401
.LBB6_2399:                             ; =>This Inner Loop Header: Depth=1
	v_mov_b32_e32 v8, 1
	s_and_saveexec_b64 s[10:11], s[2:3]
	s_cbranch_execz .LBB6_2396
; %bb.2400:                             ;   in Loop: Header=BB6_2399 Depth=1
	global_load_dword v8, v[2:3], off offset:20 sc0 sc1
	s_waitcnt vmcnt(0)
	buffer_inv sc0 sc1
	v_and_b32_e32 v8, 1, v8
	s_branch .LBB6_2396
.LBB6_2401:
	global_load_dwordx2 v[8:9], v[6:7], off
	s_and_saveexec_b64 s[10:11], s[2:3]
	s_cbranch_execz .LBB6_2404
; %bb.2402:
	v_mov_b32_e32 v6, 0
	global_load_dwordx2 v[2:3], v6, s[6:7] offset:40
	global_load_dwordx2 v[14:15], v6, s[6:7] offset:24 sc0 sc1
	global_load_dwordx2 v[10:11], v6, s[6:7]
	s_waitcnt vmcnt(2)
	v_readfirstlane_b32 s12, v2
	v_readfirstlane_b32 s13, v3
	s_add_u32 s14, s12, 1
	s_addc_u32 s15, s13, 0
	s_add_u32 s2, s14, s8
	s_addc_u32 s3, s15, s9
	s_cmp_eq_u64 s[2:3], 0
	s_cselect_b32 s3, s15, s3
	s_cselect_b32 s2, s14, s2
	s_and_b64 s[8:9], s[2:3], s[12:13]
	s_mul_i32 s9, s9, 24
	s_mul_hi_u32 s12, s8, 24
	s_mul_i32 s8, s8, 24
	s_add_i32 s9, s12, s9
	s_waitcnt vmcnt(0)
	v_lshl_add_u64 v[2:3], v[10:11], 0, s[8:9]
	v_mov_b32_e32 v12, s2
	global_store_dwordx2 v[2:3], v[14:15], off
	v_mov_b32_e32 v13, s3
	buffer_wbl2 sc0 sc1
	s_waitcnt vmcnt(0)
	global_atomic_cmpswap_x2 v[12:13], v6, v[12:15], s[6:7] offset:24 sc0 sc1
	s_mov_b64 s[8:9], 0
	s_waitcnt vmcnt(0)
	v_cmp_ne_u64_e32 vcc, v[12:13], v[14:15]
	s_and_b64 exec, exec, vcc
	s_cbranch_execz .LBB6_2404
.LBB6_2403:                             ; =>This Inner Loop Header: Depth=1
	s_sleep 1
	global_store_dwordx2 v[2:3], v[12:13], off
	v_mov_b32_e32 v10, s2
	v_mov_b32_e32 v11, s3
	buffer_wbl2 sc0 sc1
	s_waitcnt vmcnt(0)
	global_atomic_cmpswap_x2 v[10:11], v6, v[10:13], s[6:7] offset:24 sc0 sc1
	s_waitcnt vmcnt(0)
	v_cmp_eq_u64_e32 vcc, v[10:11], v[12:13]
	s_or_b64 s[8:9], vcc, s[8:9]
	v_mov_b64_e32 v[12:13], v[10:11]
	s_andn2_b64 exec, exec, s[8:9]
	s_cbranch_execnz .LBB6_2403
.LBB6_2404:
	s_or_b64 exec, exec, s[10:11]
.LBB6_2405:
	v_readfirstlane_b32 s2, v5
	v_mov_b64_e32 v[2:3], 0
	s_nop 0
	v_cmp_eq_u32_e64 s[2:3], s2, v5
	s_and_saveexec_b64 s[8:9], s[2:3]
	s_cbranch_execz .LBB6_2411
; %bb.2406:
	s_waitcnt vmcnt(0)
	v_mov_b32_e32 v6, 0
	global_load_dwordx2 v[12:13], v6, s[6:7] offset:24 sc0 sc1
	s_waitcnt vmcnt(0)
	buffer_inv sc0 sc1
	global_load_dwordx2 v[2:3], v6, s[6:7] offset:40
	global_load_dwordx2 v[10:11], v6, s[6:7]
	s_waitcnt vmcnt(1)
	v_and_b32_e32 v2, v2, v12
	v_and_b32_e32 v3, v3, v13
	v_mul_lo_u32 v3, v3, 24
	v_mul_hi_u32 v7, v2, 24
	v_add_u32_e32 v3, v7, v3
	v_mul_lo_u32 v2, v2, 24
	s_waitcnt vmcnt(0)
	v_lshl_add_u64 v[2:3], v[10:11], 0, v[2:3]
	global_load_dwordx2 v[10:11], v[2:3], off sc0 sc1
	s_waitcnt vmcnt(0)
	global_atomic_cmpswap_x2 v[2:3], v6, v[10:13], s[6:7] offset:24 sc0 sc1
	s_waitcnt vmcnt(0)
	buffer_inv sc0 sc1
	v_cmp_ne_u64_e32 vcc, v[2:3], v[12:13]
	s_and_saveexec_b64 s[10:11], vcc
	s_cbranch_execz .LBB6_2410
; %bb.2407:
	s_mov_b64 s[12:13], 0
.LBB6_2408:                             ; =>This Inner Loop Header: Depth=1
	s_sleep 1
	global_load_dwordx2 v[10:11], v6, s[6:7] offset:40
	global_load_dwordx2 v[14:15], v6, s[6:7]
	v_mov_b64_e32 v[12:13], v[2:3]
	s_waitcnt vmcnt(1)
	v_and_b32_e32 v2, v10, v12
	s_waitcnt vmcnt(0)
	v_mad_u64_u32 v[2:3], s[14:15], v2, 24, v[14:15]
	v_and_b32_e32 v7, v11, v13
	v_mov_b32_e32 v10, v3
	v_mad_u64_u32 v[10:11], s[14:15], v7, 24, v[10:11]
	v_mov_b32_e32 v3, v10
	global_load_dwordx2 v[10:11], v[2:3], off sc0 sc1
	s_waitcnt vmcnt(0)
	global_atomic_cmpswap_x2 v[2:3], v6, v[10:13], s[6:7] offset:24 sc0 sc1
	s_waitcnt vmcnt(0)
	buffer_inv sc0 sc1
	v_cmp_eq_u64_e32 vcc, v[2:3], v[12:13]
	s_or_b64 s[12:13], vcc, s[12:13]
	s_andn2_b64 exec, exec, s[12:13]
	s_cbranch_execnz .LBB6_2408
; %bb.2409:
	s_or_b64 exec, exec, s[12:13]
.LBB6_2410:
	s_or_b64 exec, exec, s[10:11]
.LBB6_2411:
	s_or_b64 exec, exec, s[8:9]
	v_mov_b32_e32 v33, 0
	global_load_dwordx2 v[6:7], v33, s[6:7] offset:40
	global_load_dwordx4 v[12:15], v33, s[6:7]
	v_readfirstlane_b32 s9, v3
	v_readfirstlane_b32 s8, v2
	s_mov_b64 s[10:11], exec
	s_waitcnt vmcnt(1)
	v_readfirstlane_b32 s12, v6
	v_readfirstlane_b32 s13, v7
	s_and_b64 s[12:13], s[12:13], s[8:9]
	s_mul_i32 s14, s13, 24
	s_mul_hi_u32 s15, s12, 24
	s_add_i32 s15, s15, s14
	s_mul_i32 s14, s12, 24
	s_waitcnt vmcnt(0)
	v_lshl_add_u64 v[2:3], v[12:13], 0, s[14:15]
	s_and_saveexec_b64 s[14:15], s[2:3]
	s_cbranch_execz .LBB6_2413
; %bb.2412:
	v_mov_b64_e32 v[16:17], s[10:11]
	v_mov_b32_e32 v18, 2
	v_mov_b32_e32 v19, 1
	global_store_dwordx4 v[2:3], v[16:19], off offset:8
.LBB6_2413:
	s_or_b64 exec, exec, s[14:15]
	s_lshl_b64 s[10:11], s[12:13], 12
	v_lshl_add_u64 v[14:15], v[14:15], 0, s[10:11]
	s_movk_i32 s10, 0xff1f
	s_mov_b32 s12, 0
	v_and_or_b32 v8, v8, s10, 32
	v_mov_b32_e32 v10, v39
	v_mov_b32_e32 v11, v33
	v_readfirstlane_b32 s10, v14
	v_readfirstlane_b32 s11, v15
	s_mov_b32 s13, s12
	s_mov_b32 s14, s12
	;; [unrolled: 1-line block ×3, first 2 shown]
	s_nop 1
	global_store_dwordx4 v32, v[8:11], s[10:11]
	v_mov_b64_e32 v[6:7], s[12:13]
	s_nop 0
	v_mov_b64_e32 v[8:9], s[14:15]
	global_store_dwordx4 v32, v[6:9], s[10:11] offset:16
	global_store_dwordx4 v32, v[6:9], s[10:11] offset:32
	;; [unrolled: 1-line block ×3, first 2 shown]
	s_and_saveexec_b64 s[10:11], s[2:3]
	s_cbranch_execz .LBB6_2421
; %bb.2414:
	v_mov_b32_e32 v16, 0
	global_load_dwordx2 v[20:21], v16, s[6:7] offset:32 sc0 sc1
	global_load_dwordx2 v[6:7], v16, s[6:7] offset:40
	v_mov_b32_e32 v18, s8
	v_mov_b32_e32 v19, s9
	s_waitcnt vmcnt(0)
	v_readfirstlane_b32 s12, v6
	v_readfirstlane_b32 s13, v7
	s_and_b64 s[12:13], s[12:13], s[8:9]
	s_mul_i32 s13, s13, 24
	s_mul_hi_u32 s14, s12, 24
	s_mul_i32 s12, s12, 24
	s_add_i32 s13, s14, s13
	v_lshl_add_u64 v[10:11], v[12:13], 0, s[12:13]
	global_store_dwordx2 v[10:11], v[20:21], off
	buffer_wbl2 sc0 sc1
	s_waitcnt vmcnt(0)
	global_atomic_cmpswap_x2 v[8:9], v16, v[18:21], s[6:7] offset:32 sc0 sc1
	s_waitcnt vmcnt(0)
	v_cmp_ne_u64_e32 vcc, v[8:9], v[20:21]
	s_and_saveexec_b64 s[12:13], vcc
	s_cbranch_execz .LBB6_2417
; %bb.2415:
	s_mov_b64 s[14:15], 0
.LBB6_2416:                             ; =>This Inner Loop Header: Depth=1
	s_sleep 1
	global_store_dwordx2 v[10:11], v[8:9], off
	v_mov_b32_e32 v6, s8
	v_mov_b32_e32 v7, s9
	buffer_wbl2 sc0 sc1
	s_waitcnt vmcnt(0)
	global_atomic_cmpswap_x2 v[6:7], v16, v[6:9], s[6:7] offset:32 sc0 sc1
	s_waitcnt vmcnt(0)
	v_cmp_eq_u64_e32 vcc, v[6:7], v[8:9]
	s_or_b64 s[14:15], vcc, s[14:15]
	v_mov_b64_e32 v[8:9], v[6:7]
	s_andn2_b64 exec, exec, s[14:15]
	s_cbranch_execnz .LBB6_2416
.LBB6_2417:
	s_or_b64 exec, exec, s[12:13]
	v_mov_b32_e32 v9, 0
	global_load_dwordx2 v[6:7], v9, s[6:7] offset:16
	s_mov_b64 s[12:13], exec
	v_mbcnt_lo_u32_b32 v8, s12, 0
	v_mbcnt_hi_u32_b32 v8, s13, v8
	v_cmp_eq_u32_e32 vcc, 0, v8
	s_and_saveexec_b64 s[14:15], vcc
	s_cbranch_execz .LBB6_2419
; %bb.2418:
	s_bcnt1_i32_b64 s12, s[12:13]
	v_mov_b32_e32 v8, s12
	buffer_wbl2 sc0 sc1
	s_waitcnt vmcnt(0)
	global_atomic_add_x2 v[6:7], v[8:9], off offset:8 sc1
.LBB6_2419:
	s_or_b64 exec, exec, s[14:15]
	s_waitcnt vmcnt(0)
	global_load_dwordx2 v[8:9], v[6:7], off offset:16
	s_waitcnt vmcnt(0)
	v_cmp_eq_u64_e32 vcc, 0, v[8:9]
	s_cbranch_vccnz .LBB6_2421
; %bb.2420:
	global_load_dword v6, v[6:7], off offset:24
	v_mov_b32_e32 v7, 0
	s_waitcnt vmcnt(0)
	v_readfirstlane_b32 s12, v6
	s_and_b32 m0, s12, 0xffffff
	buffer_wbl2 sc0 sc1
	global_store_dwordx2 v[8:9], v[6:7], off sc0 sc1
	s_sendmsg sendmsg(MSG_INTERRUPT)
.LBB6_2421:
	s_or_b64 exec, exec, s[10:11]
	v_lshl_add_u64 v[6:7], v[14:15], 0, v[32:33]
	s_branch .LBB6_2425
.LBB6_2422:                             ;   in Loop: Header=BB6_2425 Depth=1
	s_or_b64 exec, exec, s[10:11]
	v_readfirstlane_b32 s10, v8
	s_cmp_eq_u32 s10, 0
	s_cbranch_scc1 .LBB6_2424
; %bb.2423:                             ;   in Loop: Header=BB6_2425 Depth=1
	s_sleep 1
	s_cbranch_execnz .LBB6_2425
	s_branch .LBB6_2427
.LBB6_2424:
	s_branch .LBB6_2427
.LBB6_2425:                             ; =>This Inner Loop Header: Depth=1
	v_mov_b32_e32 v8, 1
	s_and_saveexec_b64 s[10:11], s[2:3]
	s_cbranch_execz .LBB6_2422
; %bb.2426:                             ;   in Loop: Header=BB6_2425 Depth=1
	global_load_dword v8, v[2:3], off offset:20 sc0 sc1
	s_waitcnt vmcnt(0)
	buffer_inv sc0 sc1
	v_and_b32_e32 v8, 1, v8
	s_branch .LBB6_2422
.LBB6_2427:
	global_load_dwordx2 v[2:3], v[6:7], off
	s_and_saveexec_b64 s[10:11], s[2:3]
	s_cbranch_execz .LBB6_2430
; %bb.2428:
	v_mov_b32_e32 v12, 0
	global_load_dwordx2 v[6:7], v12, s[6:7] offset:40
	global_load_dwordx2 v[16:17], v12, s[6:7] offset:24 sc0 sc1
	global_load_dwordx2 v[8:9], v12, s[6:7]
	s_waitcnt vmcnt(2)
	v_readfirstlane_b32 s12, v6
	v_readfirstlane_b32 s13, v7
	s_add_u32 s14, s12, 1
	s_addc_u32 s15, s13, 0
	s_add_u32 s2, s14, s8
	s_addc_u32 s3, s15, s9
	s_cmp_eq_u64 s[2:3], 0
	s_cselect_b32 s3, s15, s3
	s_cselect_b32 s2, s14, s2
	s_and_b64 s[8:9], s[2:3], s[12:13]
	s_mul_i32 s9, s9, 24
	s_mul_hi_u32 s12, s8, 24
	s_mul_i32 s8, s8, 24
	s_add_i32 s9, s12, s9
	s_waitcnt vmcnt(0)
	v_lshl_add_u64 v[10:11], v[8:9], 0, s[8:9]
	v_mov_b32_e32 v14, s2
	global_store_dwordx2 v[10:11], v[16:17], off
	v_mov_b32_e32 v15, s3
	buffer_wbl2 sc0 sc1
	s_waitcnt vmcnt(0)
	global_atomic_cmpswap_x2 v[8:9], v12, v[14:17], s[6:7] offset:24 sc0 sc1
	s_mov_b64 s[8:9], 0
	s_waitcnt vmcnt(0)
	v_cmp_ne_u64_e32 vcc, v[8:9], v[16:17]
	s_and_b64 exec, exec, vcc
	s_cbranch_execz .LBB6_2430
.LBB6_2429:                             ; =>This Inner Loop Header: Depth=1
	s_sleep 1
	global_store_dwordx2 v[10:11], v[8:9], off
	v_mov_b32_e32 v6, s2
	v_mov_b32_e32 v7, s3
	buffer_wbl2 sc0 sc1
	s_waitcnt vmcnt(0)
	global_atomic_cmpswap_x2 v[6:7], v12, v[6:9], s[6:7] offset:24 sc0 sc1
	s_waitcnt vmcnt(0)
	v_cmp_eq_u64_e32 vcc, v[6:7], v[8:9]
	s_or_b64 s[8:9], vcc, s[8:9]
	v_mov_b64_e32 v[8:9], v[6:7]
	s_andn2_b64 exec, exec, s[8:9]
	s_cbranch_execnz .LBB6_2429
.LBB6_2430:
	s_or_b64 exec, exec, s[10:11]
	v_readfirstlane_b32 s2, v5
	v_mov_b64_e32 v[10:11], 0
	s_nop 0
	v_cmp_eq_u32_e64 s[2:3], s2, v5
	s_and_saveexec_b64 s[8:9], s[2:3]
	s_cbranch_execz .LBB6_2436
; %bb.2431:
	v_mov_b32_e32 v5, 0
	global_load_dwordx2 v[8:9], v5, s[6:7] offset:24 sc0 sc1
	s_waitcnt vmcnt(0)
	buffer_inv sc0 sc1
	global_load_dwordx2 v[6:7], v5, s[6:7] offset:40
	global_load_dwordx2 v[10:11], v5, s[6:7]
	s_waitcnt vmcnt(1)
	v_and_b32_e32 v6, v6, v8
	v_and_b32_e32 v7, v7, v9
	v_mul_lo_u32 v7, v7, 24
	v_mul_hi_u32 v12, v6, 24
	v_add_u32_e32 v7, v12, v7
	v_mul_lo_u32 v6, v6, 24
	s_waitcnt vmcnt(0)
	v_lshl_add_u64 v[6:7], v[10:11], 0, v[6:7]
	global_load_dwordx2 v[6:7], v[6:7], off sc0 sc1
	s_waitcnt vmcnt(0)
	global_atomic_cmpswap_x2 v[10:11], v5, v[6:9], s[6:7] offset:24 sc0 sc1
	s_waitcnt vmcnt(0)
	buffer_inv sc0 sc1
	v_cmp_ne_u64_e32 vcc, v[10:11], v[8:9]
	s_and_saveexec_b64 s[10:11], vcc
	s_cbranch_execz .LBB6_2435
; %bb.2432:
	s_mov_b64 s[12:13], 0
.LBB6_2433:                             ; =>This Inner Loop Header: Depth=1
	s_sleep 1
	global_load_dwordx2 v[6:7], v5, s[6:7] offset:40
	global_load_dwordx2 v[12:13], v5, s[6:7]
	v_mov_b64_e32 v[8:9], v[10:11]
	s_waitcnt vmcnt(1)
	v_and_b32_e32 v6, v6, v8
	v_and_b32_e32 v11, v7, v9
	s_waitcnt vmcnt(0)
	v_mad_u64_u32 v[6:7], s[14:15], v6, 24, v[12:13]
	v_mov_b32_e32 v10, v7
	v_mad_u64_u32 v[10:11], s[14:15], v11, 24, v[10:11]
	v_mov_b32_e32 v7, v10
	global_load_dwordx2 v[6:7], v[6:7], off sc0 sc1
	s_waitcnt vmcnt(0)
	global_atomic_cmpswap_x2 v[10:11], v5, v[6:9], s[6:7] offset:24 sc0 sc1
	s_waitcnt vmcnt(0)
	buffer_inv sc0 sc1
	v_cmp_eq_u64_e32 vcc, v[10:11], v[8:9]
	s_or_b64 s[12:13], vcc, s[12:13]
	s_andn2_b64 exec, exec, s[12:13]
	s_cbranch_execnz .LBB6_2433
; %bb.2434:
	s_or_b64 exec, exec, s[12:13]
.LBB6_2435:
	s_or_b64 exec, exec, s[10:11]
.LBB6_2436:
	s_or_b64 exec, exec, s[8:9]
	v_mov_b32_e32 v5, 0
	global_load_dwordx2 v[12:13], v5, s[6:7] offset:40
	global_load_dwordx4 v[6:9], v5, s[6:7]
	v_readfirstlane_b32 s9, v11
	v_readfirstlane_b32 s8, v10
	s_mov_b64 s[10:11], exec
	s_waitcnt vmcnt(1)
	v_readfirstlane_b32 s12, v12
	v_readfirstlane_b32 s13, v13
	s_and_b64 s[12:13], s[12:13], s[8:9]
	s_mul_i32 s14, s13, 24
	s_mul_hi_u32 s15, s12, 24
	s_add_i32 s15, s15, s14
	s_mul_i32 s14, s12, 24
	s_waitcnt vmcnt(0)
	v_lshl_add_u64 v[10:11], v[6:7], 0, s[14:15]
	s_and_saveexec_b64 s[14:15], s[2:3]
	s_cbranch_execz .LBB6_2438
; %bb.2437:
	v_mov_b64_e32 v[12:13], s[10:11]
	v_mov_b32_e32 v14, 2
	v_mov_b32_e32 v15, 1
	global_store_dwordx4 v[10:11], v[12:15], off offset:8
.LBB6_2438:
	s_or_b64 exec, exec, s[14:15]
	s_lshl_b64 s[10:11], s[12:13], 12
	v_lshl_add_u64 v[8:9], v[8:9], 0, s[10:11]
	s_movk_i32 s10, 0xff1d
	s_mov_b32 s12, 0
	v_and_or_b32 v2, v2, s10, 34
	v_readfirstlane_b32 s10, v8
	v_readfirstlane_b32 s11, v9
	s_mov_b32 s13, s12
	s_mov_b32 s14, s12
	;; [unrolled: 1-line block ×3, first 2 shown]
	s_nop 1
	global_store_dwordx4 v32, v[2:5], s[10:11]
	s_nop 1
	v_mov_b64_e32 v[2:3], s[12:13]
	v_mov_b64_e32 v[4:5], s[14:15]
	global_store_dwordx4 v32, v[2:5], s[10:11] offset:16
	global_store_dwordx4 v32, v[2:5], s[10:11] offset:32
	;; [unrolled: 1-line block ×3, first 2 shown]
	s_and_saveexec_b64 s[10:11], s[2:3]
	s_cbranch_execz .LBB6_2446
; %bb.2439:
	v_mov_b32_e32 v8, 0
	global_load_dwordx2 v[14:15], v8, s[6:7] offset:32 sc0 sc1
	global_load_dwordx2 v[2:3], v8, s[6:7] offset:40
	v_mov_b32_e32 v12, s8
	v_mov_b32_e32 v13, s9
	s_waitcnt vmcnt(0)
	v_readfirstlane_b32 s12, v2
	v_readfirstlane_b32 s13, v3
	s_and_b64 s[12:13], s[12:13], s[8:9]
	s_mul_i32 s13, s13, 24
	s_mul_hi_u32 s14, s12, 24
	s_mul_i32 s12, s12, 24
	s_add_i32 s13, s14, s13
	v_lshl_add_u64 v[6:7], v[6:7], 0, s[12:13]
	global_store_dwordx2 v[6:7], v[14:15], off
	buffer_wbl2 sc0 sc1
	s_waitcnt vmcnt(0)
	global_atomic_cmpswap_x2 v[4:5], v8, v[12:15], s[6:7] offset:32 sc0 sc1
	s_waitcnt vmcnt(0)
	v_cmp_ne_u64_e32 vcc, v[4:5], v[14:15]
	s_and_saveexec_b64 s[12:13], vcc
	s_cbranch_execz .LBB6_2442
; %bb.2440:
	s_mov_b64 s[14:15], 0
.LBB6_2441:                             ; =>This Inner Loop Header: Depth=1
	s_sleep 1
	global_store_dwordx2 v[6:7], v[4:5], off
	v_mov_b32_e32 v2, s8
	v_mov_b32_e32 v3, s9
	buffer_wbl2 sc0 sc1
	s_waitcnt vmcnt(0)
	global_atomic_cmpswap_x2 v[2:3], v8, v[2:5], s[6:7] offset:32 sc0 sc1
	s_waitcnt vmcnt(0)
	v_cmp_eq_u64_e32 vcc, v[2:3], v[4:5]
	s_or_b64 s[14:15], vcc, s[14:15]
	v_mov_b64_e32 v[4:5], v[2:3]
	s_andn2_b64 exec, exec, s[14:15]
	s_cbranch_execnz .LBB6_2441
.LBB6_2442:
	s_or_b64 exec, exec, s[12:13]
	v_mov_b32_e32 v5, 0
	global_load_dwordx2 v[2:3], v5, s[6:7] offset:16
	s_mov_b64 s[12:13], exec
	v_mbcnt_lo_u32_b32 v4, s12, 0
	v_mbcnt_hi_u32_b32 v4, s13, v4
	v_cmp_eq_u32_e32 vcc, 0, v4
	s_and_saveexec_b64 s[14:15], vcc
	s_cbranch_execz .LBB6_2444
; %bb.2443:
	s_bcnt1_i32_b64 s12, s[12:13]
	v_mov_b32_e32 v4, s12
	buffer_wbl2 sc0 sc1
	s_waitcnt vmcnt(0)
	global_atomic_add_x2 v[2:3], v[4:5], off offset:8 sc1
.LBB6_2444:
	s_or_b64 exec, exec, s[14:15]
	s_waitcnt vmcnt(0)
	global_load_dwordx2 v[4:5], v[2:3], off offset:16
	s_waitcnt vmcnt(0)
	v_cmp_eq_u64_e32 vcc, 0, v[4:5]
	s_cbranch_vccnz .LBB6_2446
; %bb.2445:
	global_load_dword v2, v[2:3], off offset:24
	v_mov_b32_e32 v3, 0
	s_waitcnt vmcnt(0)
	v_readfirstlane_b32 s12, v2
	s_and_b32 m0, s12, 0xffffff
	buffer_wbl2 sc0 sc1
	global_store_dwordx2 v[4:5], v[2:3], off sc0 sc1
	s_sendmsg sendmsg(MSG_INTERRUPT)
.LBB6_2446:
	s_or_b64 exec, exec, s[10:11]
	s_branch .LBB6_2450
.LBB6_2447:                             ;   in Loop: Header=BB6_2450 Depth=1
	s_or_b64 exec, exec, s[10:11]
	v_readfirstlane_b32 s10, v2
	s_cmp_eq_u32 s10, 0
	s_cbranch_scc1 .LBB6_2449
; %bb.2448:                             ;   in Loop: Header=BB6_2450 Depth=1
	s_sleep 1
	s_cbranch_execnz .LBB6_2450
	s_branch .LBB6_2452
.LBB6_2449:
	s_branch .LBB6_2452
.LBB6_2450:                             ; =>This Inner Loop Header: Depth=1
	v_mov_b32_e32 v2, 1
	s_and_saveexec_b64 s[10:11], s[2:3]
	s_cbranch_execz .LBB6_2447
; %bb.2451:                             ;   in Loop: Header=BB6_2450 Depth=1
	global_load_dword v2, v[10:11], off offset:20 sc0 sc1
	s_waitcnt vmcnt(0)
	buffer_inv sc0 sc1
	v_and_b32_e32 v2, 1, v2
	s_branch .LBB6_2447
.LBB6_2452:
	s_and_b64 exec, exec, s[2:3]
	s_cbranch_execz .LBB6_2455
; %bb.2453:
	v_mov_b32_e32 v8, 0
	global_load_dwordx2 v[2:3], v8, s[6:7] offset:40
	global_load_dwordx2 v[12:13], v8, s[6:7] offset:24 sc0 sc1
	global_load_dwordx2 v[4:5], v8, s[6:7]
	s_waitcnt vmcnt(2)
	v_readfirstlane_b32 s10, v2
	v_readfirstlane_b32 s11, v3
	s_add_u32 s12, s10, 1
	s_addc_u32 s13, s11, 0
	s_add_u32 s2, s12, s8
	s_addc_u32 s3, s13, s9
	s_cmp_eq_u64 s[2:3], 0
	s_cselect_b32 s3, s13, s3
	s_cselect_b32 s2, s12, s2
	s_and_b64 s[8:9], s[2:3], s[10:11]
	s_mul_i32 s9, s9, 24
	s_mul_hi_u32 s10, s8, 24
	s_mul_i32 s8, s8, 24
	s_add_i32 s9, s10, s9
	s_waitcnt vmcnt(0)
	v_lshl_add_u64 v[6:7], v[4:5], 0, s[8:9]
	v_mov_b32_e32 v10, s2
	global_store_dwordx2 v[6:7], v[12:13], off
	v_mov_b32_e32 v11, s3
	buffer_wbl2 sc0 sc1
	s_waitcnt vmcnt(0)
	global_atomic_cmpswap_x2 v[4:5], v8, v[10:13], s[6:7] offset:24 sc0 sc1
	s_mov_b64 s[8:9], 0
	s_waitcnt vmcnt(0)
	v_cmp_ne_u64_e32 vcc, v[4:5], v[12:13]
	s_and_b64 exec, exec, vcc
	s_cbranch_execz .LBB6_2455
.LBB6_2454:                             ; =>This Inner Loop Header: Depth=1
	s_sleep 1
	global_store_dwordx2 v[6:7], v[4:5], off
	v_mov_b32_e32 v2, s2
	v_mov_b32_e32 v3, s3
	buffer_wbl2 sc0 sc1
	s_waitcnt vmcnt(0)
	global_atomic_cmpswap_x2 v[2:3], v8, v[2:5], s[6:7] offset:24 sc0 sc1
	s_waitcnt vmcnt(0)
	v_cmp_eq_u64_e32 vcc, v[2:3], v[4:5]
	s_or_b64 s[8:9], vcc, s[8:9]
	v_mov_b64_e32 v[4:5], v[2:3]
	s_andn2_b64 exec, exec, s[8:9]
	s_cbranch_execnz .LBB6_2454
.LBB6_2455:
	s_or_b64 exec, exec, s[4:5]
	v_or_b32_e32 v0, v0, v41
	v_cmp_lt_i32_e32 vcc, -1, v0
	s_xor_b64 s[0:1], s[0:1], -1
	s_and_b64 s[0:1], vcc, s[0:1]
	s_mov_b64 s[26:27], 0
                                        ; implicit-def: $vgpr41
	s_and_saveexec_b64 s[2:3], s[0:1]
	s_xor_b64 s[0:1], exec, s[2:3]
	s_cbranch_execz .LBB6_2457
; %bb.2456:
	flat_load_dword v2, v[42:43]
	v_lshl_or_b32 v0, v38, 1, 1
	s_mov_b64 s[26:27], exec
	s_waitcnt vmcnt(0) lgkmcnt(0)
	v_ashrrev_i32_e32 v3, 31, v2
	v_add_u32_e32 v4, 1, v2
	flat_store_dword v[42:43], v4
	v_lshl_add_u64 v[4:5], v[2:3], 3, v[42:43]
	flat_store_dwordx2 v[4:5], v[0:1] offset:8
	v_lshl_or_b32 v41, v2, 1, 1
.LBB6_2457:
	s_or_saveexec_b64 s[28:29], s[0:1]
	s_mov_b64 s[0:1], s[22:23]
	s_xor_b64 exec, exec, s[28:29]
	s_cbranch_execz .LBB6_2459
; %bb.2458:
	s_getpc_b64 s[0:1]
	s_add_u32 s0, s0, .str.46@rel32@lo+4
	s_addc_u32 s1, s1, .str.46@rel32@hi+12
	s_getpc_b64 s[2:3]
	s_add_u32 s2, s2, .str.44@rel32@lo+4
	s_addc_u32 s3, s3, .str.44@rel32@hi+12
	s_getpc_b64 s[4:5]
	s_add_u32 s4, s4, __PRETTY_FUNCTION__._ZN8subgUtil18formAndNodeKeyFlagEiii@rel32@lo+4
	s_addc_u32 s5, s5, __PRETTY_FUNCTION__._ZN8subgUtil18formAndNodeKeyFlagEiii@rel32@hi+12
	s_getpc_b64 s[6:7]
	s_add_u32 s6, s6, __assert_fail@rel32@lo+4
	s_addc_u32 s7, s7, __assert_fail@rel32@hi+12
	s_mov_b64 s[8:9], s[64:65]
	v_mov_b32_e32 v0, s0
	v_mov_b32_e32 v1, s1
	v_mov_b32_e32 v2, s2
	v_mov_b32_e32 v3, s3
	v_mov_b32_e32 v4, 35
	v_mov_b32_e32 v5, s4
	v_mov_b32_e32 v6, s5
	s_swappc_b64 s[30:31], s[6:7]
	s_or_b64 s[0:1], s[22:23], exec
.LBB6_2459:
	s_or_b64 exec, exec, s[28:29]
	s_andn2_b64 s[2:3], s[22:23], exec
	s_and_b64 s[0:1], s[0:1], exec
	v_readlane_b32 s50, v47, 4
	v_readlane_b32 s52, v47, 2
	s_or_b64 s[22:23], s[2:3], s[0:1]
	s_and_b64 s[2:3], s[26:27], exec
	v_readlane_b32 s51, v47, 5
	v_readlane_b32 s53, v47, 3
.LBB6_2460:
	s_or_b64 exec, exec, s[24:25]
	s_andn2_b64 s[0:1], s[34:35], exec
	s_and_b64 s[4:5], s[22:23], exec
	v_readlane_b32 s28, v47, 26
	v_readlane_b32 s40, v47, 24
	;; [unrolled: 1-line block ×11, first 2 shown]
	s_or_b64 s[0:1], s[0:1], s[4:5]
	s_orn2_b64 s[2:3], s[2:3], exec
	v_readlane_b32 s29, v47, 27
	v_readlane_b32 s41, v47, 25
	;; [unrolled: 1-line block ×11, first 2 shown]
.LBB6_2461:
	s_or_b64 exec, exec, s[38:39]
	s_mov_b64 s[6:7], s[46:47]
	s_and_saveexec_b64 s[4:5], s[2:3]
; %bb.2462:
	s_or_b64 s[6:7], s[46:47], exec
; %bb.2463:
	s_or_b64 exec, exec, s[4:5]
	s_andn2_b64 s[2:3], s[34:35], exec
	s_and_b64 s[0:1], s[0:1], exec
	s_or_b64 s[4:5], s[2:3], s[0:1]
	s_andn2_b64 s[2:3], s[46:47], exec
	s_and_b64 s[6:7], s[6:7], exec
	s_xor_b64 s[0:1], exec, -1
	s_or_b64 s[2:3], s[2:3], s[6:7]
.LBB6_2464:
	s_or_b64 exec, exec, s[48:49]
	s_andn2_b64 s[6:7], s[34:35], exec
	s_and_b64 s[4:5], s[4:5], exec
	s_or_b64 s[34:35], s[6:7], s[4:5]
	s_andn2_b64 s[4:5], s[46:47], exec
	s_and_b64 s[2:3], s[2:3], exec
	s_and_b64 s[0:1], s[0:1], exec
	s_or_b64 s[2:3], s[4:5], s[2:3]
.LBB6_2465:
	s_or_b64 exec, exec, s[36:37]
	s_andn2_b64 s[4:5], s[52:53], exec
	s_and_b64 s[6:7], s[34:35], exec
	s_or_b64 s[10:11], s[4:5], s[6:7]
	s_andn2_b64 s[4:5], s[46:47], exec
	s_and_b64 s[2:3], s[2:3], exec
	v_readlane_b32 s6, v47, 0
	s_and_b64 s[0:1], s[0:1], exec
	s_or_b64 s[2:3], s[4:5], s[2:3]
	v_readlane_b32 s7, v47, 1
.LBB6_2466:
	s_or_b64 exec, exec, s[6:7]
	s_andn2_b64 s[4:5], s[84:85], exec
	s_and_b64 s[6:7], s[10:11], exec
	s_or_b64 s[84:85], s[4:5], s[6:7]
	s_andn2_b64 s[4:5], s[46:47], exec
	s_and_b64 s[2:3], s[2:3], exec
	s_and_b64 s[0:1], s[0:1], exec
	s_or_b64 s[4:5], s[4:5], s[2:3]
.LBB6_2467:
	s_or_b64 exec, exec, s[50:51]
	s_andn2_b64 s[2:3], s[44:45], exec
	s_and_b64 s[6:7], s[84:85], exec
	s_andn2_b64 s[8:9], s[46:47], exec
	s_and_b64 s[4:5], s[4:5], exec
	s_or_b64 s[6:7], s[2:3], s[6:7]
	s_xor_b64 s[2:3], exec, -1
	s_and_b64 s[0:1], s[0:1], exec
	s_or_b64 s[4:5], s[8:9], s[4:5]
.LBB6_2468:
	s_or_b64 exec, exec, s[54:55]
	s_andn2_b64 s[8:9], s[44:45], exec
	s_and_b64 s[6:7], s[6:7], exec
	s_and_b64 s[76:77], s[2:3], exec
	;; [unrolled: 1-line block ×3, first 2 shown]
	s_andn2_b64 s[0:1], s[46:47], exec
	s_and_b64 s[2:3], s[4:5], exec
	s_or_b64 s[44:45], s[8:9], s[6:7]
	s_or_b64 s[46:47], s[0:1], s[2:3]
.LBB6_2469:
	s_or_b64 exec, exec, s[74:75]
	s_and_saveexec_b64 s[0:1], s[46:47]
	s_or_b64 exec, exec, s[0:1]
	s_and_saveexec_b64 s[0:1], s[72:73]
	s_xor_b64 s[22:23], exec, s[0:1]
	s_cbranch_execz .LBB6_2471
; %bb.2470:
	s_getpc_b64 s[0:1]
	s_add_u32 s0, s0, .str.46@rel32@lo+4
	s_addc_u32 s1, s1, .str.46@rel32@hi+12
	s_getpc_b64 s[2:3]
	s_add_u32 s2, s2, .str.44@rel32@lo+4
	s_addc_u32 s3, s3, .str.44@rel32@hi+12
	s_getpc_b64 s[4:5]
	s_add_u32 s4, s4, __PRETTY_FUNCTION__._ZN8subgUtil18formAndNodeKeyFlagEiii@rel32@lo+4
	s_addc_u32 s5, s5, __PRETTY_FUNCTION__._ZN8subgUtil18formAndNodeKeyFlagEiii@rel32@hi+12
	s_getpc_b64 s[6:7]
	s_add_u32 s6, s6, __assert_fail@rel32@lo+4
	s_addc_u32 s7, s7, __assert_fail@rel32@hi+12
	s_mov_b64 s[8:9], s[64:65]
	v_mov_b32_e32 v0, s0
	v_mov_b32_e32 v1, s1
	;; [unrolled: 1-line block ×7, first 2 shown]
	s_swappc_b64 s[30:31], s[6:7]
	s_or_b64 s[44:45], s[44:45], exec
.LBB6_2471:
	s_or_b64 exec, exec, s[22:23]
	s_and_saveexec_b64 s[22:23], s[76:77]
	s_cbranch_execz .LBB6_2612
; %bb.2472:
	s_load_dwordx2 s[2:3], s[64:65], 0x50
	v_mbcnt_lo_u32_b32 v0, -1, 0
	v_mbcnt_hi_u32_b32 v32, -1, v0
	v_mov_b64_e32 v[4:5], 0
	v_readfirstlane_b32 s0, v32
	s_nop 1
	v_cmp_eq_u32_e64 s[0:1], s0, v32
	s_and_saveexec_b64 s[4:5], s[0:1]
	s_cbranch_execz .LBB6_2478
; %bb.2473:
	v_mov_b32_e32 v0, 0
	s_waitcnt lgkmcnt(0)
	global_load_dwordx2 v[6:7], v0, s[2:3] offset:24 sc0 sc1
	s_waitcnt vmcnt(0)
	buffer_inv sc0 sc1
	global_load_dwordx2 v[2:3], v0, s[2:3] offset:40
	global_load_dwordx2 v[4:5], v0, s[2:3]
	s_waitcnt vmcnt(1)
	v_and_b32_e32 v1, v2, v6
	v_and_b32_e32 v2, v3, v7
	v_mul_lo_u32 v2, v2, 24
	v_mul_hi_u32 v3, v1, 24
	v_add_u32_e32 v3, v3, v2
	v_mul_lo_u32 v2, v1, 24
	s_waitcnt vmcnt(0)
	v_lshl_add_u64 v[2:3], v[4:5], 0, v[2:3]
	global_load_dwordx2 v[4:5], v[2:3], off sc0 sc1
	s_waitcnt vmcnt(0)
	global_atomic_cmpswap_x2 v[4:5], v0, v[4:7], s[2:3] offset:24 sc0 sc1
	s_waitcnt vmcnt(0)
	buffer_inv sc0 sc1
	v_cmp_ne_u64_e32 vcc, v[4:5], v[6:7]
	s_and_saveexec_b64 s[6:7], vcc
	s_cbranch_execz .LBB6_2477
; %bb.2474:
	s_mov_b64 s[8:9], 0
.LBB6_2475:                             ; =>This Inner Loop Header: Depth=1
	s_sleep 1
	global_load_dwordx2 v[2:3], v0, s[2:3] offset:40
	global_load_dwordx2 v[8:9], v0, s[2:3]
	v_mov_b64_e32 v[6:7], v[4:5]
	s_waitcnt vmcnt(1)
	v_and_b32_e32 v2, v2, v6
	v_and_b32_e32 v1, v3, v7
	s_waitcnt vmcnt(0)
	v_mad_u64_u32 v[2:3], s[10:11], v2, 24, v[8:9]
	v_mov_b32_e32 v4, v3
	v_mad_u64_u32 v[4:5], s[10:11], v1, 24, v[4:5]
	v_mov_b32_e32 v3, v4
	global_load_dwordx2 v[4:5], v[2:3], off sc0 sc1
	s_waitcnt vmcnt(0)
	global_atomic_cmpswap_x2 v[4:5], v0, v[4:7], s[2:3] offset:24 sc0 sc1
	s_waitcnt vmcnt(0)
	buffer_inv sc0 sc1
	v_cmp_eq_u64_e32 vcc, v[4:5], v[6:7]
	s_or_b64 s[8:9], vcc, s[8:9]
	s_andn2_b64 exec, exec, s[8:9]
	s_cbranch_execnz .LBB6_2475
; %bb.2476:
	s_or_b64 exec, exec, s[8:9]
.LBB6_2477:
	s_or_b64 exec, exec, s[6:7]
.LBB6_2478:
	s_or_b64 exec, exec, s[4:5]
	v_mov_b32_e32 v27, 0
	s_waitcnt lgkmcnt(0)
	global_load_dwordx2 v[6:7], v27, s[2:3] offset:40
	global_load_dwordx4 v[0:3], v27, s[2:3]
	v_readfirstlane_b32 s5, v5
	v_readfirstlane_b32 s4, v4
	s_mov_b64 s[6:7], exec
	s_waitcnt vmcnt(0)
	v_readfirstlane_b32 s8, v6
	v_readfirstlane_b32 s9, v7
	s_and_b64 s[8:9], s[8:9], s[4:5]
	s_mul_i32 s10, s9, 24
	s_mul_hi_u32 s11, s8, 24
	s_add_i32 s11, s11, s10
	s_mul_i32 s10, s8, 24
	v_lshl_add_u64 v[4:5], v[0:1], 0, s[10:11]
	s_and_saveexec_b64 s[10:11], s[0:1]
	s_cbranch_execz .LBB6_2480
; %bb.2479:
	v_mov_b64_e32 v[6:7], s[6:7]
	v_mov_b32_e32 v8, 2
	v_mov_b32_e32 v9, 1
	global_store_dwordx4 v[4:5], v[6:9], off offset:8
.LBB6_2480:
	s_or_b64 exec, exec, s[10:11]
	s_lshl_b64 s[6:7], s[8:9], 12
	v_lshl_add_u64 v[6:7], v[2:3], 0, s[6:7]
	s_mov_b32 s8, 0
	v_lshlrev_b32_e32 v26, 6, v32
	v_mov_b32_e32 v8, 33
	v_mov_b32_e32 v9, v27
	;; [unrolled: 1-line block ×4, first 2 shown]
	v_readfirstlane_b32 s6, v6
	v_readfirstlane_b32 s7, v7
	s_mov_b32 s9, s8
	s_mov_b32 s10, s8
	;; [unrolled: 1-line block ×3, first 2 shown]
	s_nop 1
	global_store_dwordx4 v26, v[8:11], s[6:7]
	s_nop 1
	v_mov_b64_e32 v[8:9], s[8:9]
	v_mov_b64_e32 v[10:11], s[10:11]
	global_store_dwordx4 v26, v[8:11], s[6:7] offset:16
	global_store_dwordx4 v26, v[8:11], s[6:7] offset:32
	global_store_dwordx4 v26, v[8:11], s[6:7] offset:48
	s_and_saveexec_b64 s[6:7], s[0:1]
	s_cbranch_execz .LBB6_2488
; %bb.2481:
	v_mov_b32_e32 v10, 0
	global_load_dwordx2 v[14:15], v10, s[2:3] offset:32 sc0 sc1
	global_load_dwordx2 v[2:3], v10, s[2:3] offset:40
	v_mov_b32_e32 v12, s4
	v_mov_b32_e32 v13, s5
	s_waitcnt vmcnt(0)
	v_and_b32_e32 v2, s4, v2
	v_and_b32_e32 v3, s5, v3
	v_mul_lo_u32 v3, v3, 24
	v_mul_hi_u32 v8, v2, 24
	v_mul_lo_u32 v2, v2, 24
	v_add_u32_e32 v3, v8, v3
	v_lshl_add_u64 v[8:9], v[0:1], 0, v[2:3]
	global_store_dwordx2 v[8:9], v[14:15], off
	buffer_wbl2 sc0 sc1
	s_waitcnt vmcnt(0)
	global_atomic_cmpswap_x2 v[2:3], v10, v[12:15], s[2:3] offset:32 sc0 sc1
	s_waitcnt vmcnt(0)
	v_cmp_ne_u64_e32 vcc, v[2:3], v[14:15]
	s_and_saveexec_b64 s[8:9], vcc
	s_cbranch_execz .LBB6_2484
; %bb.2482:
	s_mov_b64 s[10:11], 0
.LBB6_2483:                             ; =>This Inner Loop Header: Depth=1
	s_sleep 1
	global_store_dwordx2 v[8:9], v[2:3], off
	v_mov_b32_e32 v0, s4
	v_mov_b32_e32 v1, s5
	buffer_wbl2 sc0 sc1
	s_waitcnt vmcnt(0)
	global_atomic_cmpswap_x2 v[0:1], v10, v[0:3], s[2:3] offset:32 sc0 sc1
	s_waitcnt vmcnt(0)
	v_cmp_eq_u64_e32 vcc, v[0:1], v[2:3]
	s_or_b64 s[10:11], vcc, s[10:11]
	v_mov_b64_e32 v[2:3], v[0:1]
	s_andn2_b64 exec, exec, s[10:11]
	s_cbranch_execnz .LBB6_2483
.LBB6_2484:
	s_or_b64 exec, exec, s[8:9]
	v_mov_b32_e32 v3, 0
	global_load_dwordx2 v[0:1], v3, s[2:3] offset:16
	s_mov_b64 s[8:9], exec
	v_mbcnt_lo_u32_b32 v2, s8, 0
	v_mbcnt_hi_u32_b32 v2, s9, v2
	v_cmp_eq_u32_e32 vcc, 0, v2
	s_and_saveexec_b64 s[10:11], vcc
	s_cbranch_execz .LBB6_2486
; %bb.2485:
	s_bcnt1_i32_b64 s8, s[8:9]
	v_mov_b32_e32 v2, s8
	buffer_wbl2 sc0 sc1
	s_waitcnt vmcnt(0)
	global_atomic_add_x2 v[0:1], v[2:3], off offset:8 sc1
.LBB6_2486:
	s_or_b64 exec, exec, s[10:11]
	s_waitcnt vmcnt(0)
	global_load_dwordx2 v[2:3], v[0:1], off offset:16
	s_waitcnt vmcnt(0)
	v_cmp_eq_u64_e32 vcc, 0, v[2:3]
	s_cbranch_vccnz .LBB6_2488
; %bb.2487:
	global_load_dword v0, v[0:1], off offset:24
	v_mov_b32_e32 v1, 0
	s_waitcnt vmcnt(0)
	v_readfirstlane_b32 s8, v0
	s_and_b32 m0, s8, 0xffffff
	buffer_wbl2 sc0 sc1
	global_store_dwordx2 v[2:3], v[0:1], off sc0 sc1
	s_sendmsg sendmsg(MSG_INTERRUPT)
.LBB6_2488:
	s_or_b64 exec, exec, s[6:7]
	v_lshl_add_u64 v[0:1], v[6:7], 0, v[26:27]
	s_branch .LBB6_2492
.LBB6_2489:                             ;   in Loop: Header=BB6_2492 Depth=1
	s_or_b64 exec, exec, s[6:7]
	v_readfirstlane_b32 s6, v2
	s_cmp_eq_u32 s6, 0
	s_cbranch_scc1 .LBB6_2491
; %bb.2490:                             ;   in Loop: Header=BB6_2492 Depth=1
	s_sleep 1
	s_cbranch_execnz .LBB6_2492
	s_branch .LBB6_2494
.LBB6_2491:
	s_branch .LBB6_2494
.LBB6_2492:                             ; =>This Inner Loop Header: Depth=1
	v_mov_b32_e32 v2, 1
	s_and_saveexec_b64 s[6:7], s[0:1]
	s_cbranch_execz .LBB6_2489
; %bb.2493:                             ;   in Loop: Header=BB6_2492 Depth=1
	global_load_dword v2, v[4:5], off offset:20 sc0 sc1
	s_waitcnt vmcnt(0)
	buffer_inv sc0 sc1
	v_and_b32_e32 v2, 1, v2
	s_branch .LBB6_2489
.LBB6_2494:
	global_load_dwordx2 v[0:1], v[0:1], off
	s_and_saveexec_b64 s[6:7], s[0:1]
	s_cbranch_execz .LBB6_2497
; %bb.2495:
	v_mov_b32_e32 v8, 0
	global_load_dwordx2 v[2:3], v8, s[2:3] offset:40
	global_load_dwordx2 v[12:13], v8, s[2:3] offset:24 sc0 sc1
	global_load_dwordx2 v[4:5], v8, s[2:3]
	s_waitcnt vmcnt(2)
	v_readfirstlane_b32 s8, v2
	v_readfirstlane_b32 s9, v3
	s_add_u32 s10, s8, 1
	s_addc_u32 s11, s9, 0
	s_add_u32 s0, s10, s4
	s_addc_u32 s1, s11, s5
	s_cmp_eq_u64 s[0:1], 0
	s_cselect_b32 s1, s11, s1
	s_cselect_b32 s0, s10, s0
	s_and_b64 s[4:5], s[0:1], s[8:9]
	s_mul_i32 s5, s5, 24
	s_mul_hi_u32 s8, s4, 24
	s_mul_i32 s4, s4, 24
	s_add_i32 s5, s8, s5
	s_waitcnt vmcnt(0)
	v_lshl_add_u64 v[6:7], v[4:5], 0, s[4:5]
	v_mov_b32_e32 v10, s0
	global_store_dwordx2 v[6:7], v[12:13], off
	v_mov_b32_e32 v11, s1
	buffer_wbl2 sc0 sc1
	s_waitcnt vmcnt(0)
	global_atomic_cmpswap_x2 v[4:5], v8, v[10:13], s[2:3] offset:24 sc0 sc1
	s_mov_b64 s[4:5], 0
	s_waitcnt vmcnt(0)
	v_cmp_ne_u64_e32 vcc, v[4:5], v[12:13]
	s_and_b64 exec, exec, vcc
	s_cbranch_execz .LBB6_2497
.LBB6_2496:                             ; =>This Inner Loop Header: Depth=1
	s_sleep 1
	global_store_dwordx2 v[6:7], v[4:5], off
	v_mov_b32_e32 v2, s0
	v_mov_b32_e32 v3, s1
	buffer_wbl2 sc0 sc1
	s_waitcnt vmcnt(0)
	global_atomic_cmpswap_x2 v[2:3], v8, v[2:5], s[2:3] offset:24 sc0 sc1
	s_waitcnt vmcnt(0)
	v_cmp_eq_u64_e32 vcc, v[2:3], v[4:5]
	s_or_b64 s[4:5], vcc, s[4:5]
	v_mov_b64_e32 v[4:5], v[2:3]
	s_andn2_b64 exec, exec, s[4:5]
	s_cbranch_execnz .LBB6_2496
.LBB6_2497:
	s_or_b64 exec, exec, s[6:7]
	s_getpc_b64 s[4:5]
	s_add_u32 s4, s4, .str.28@rel32@lo+4
	s_addc_u32 s5, s5, .str.28@rel32@hi+12
	s_cmp_lg_u64 s[4:5], 0
	s_cbranch_scc0 .LBB6_2583
; %bb.2498:
	s_waitcnt vmcnt(0)
	v_and_b32_e32 v6, -3, v0
	v_mov_b32_e32 v7, v1
	s_mov_b64 s[6:7], 35
	v_mov_b32_e32 v29, 0
	v_mov_b32_e32 v4, 2
	;; [unrolled: 1-line block ×3, first 2 shown]
	s_branch .LBB6_2500
.LBB6_2499:                             ;   in Loop: Header=BB6_2500 Depth=1
	s_or_b64 exec, exec, s[12:13]
	s_sub_u32 s6, s6, s8
	s_subb_u32 s7, s7, s9
	s_add_u32 s4, s4, s8
	s_addc_u32 s5, s5, s9
	s_cmp_lg_u64 s[6:7], 0
	s_cbranch_scc0 .LBB6_2582
.LBB6_2500:                             ; =>This Loop Header: Depth=1
                                        ;     Child Loop BB6_2503 Depth 2
                                        ;     Child Loop BB6_2511 Depth 2
	;; [unrolled: 1-line block ×11, first 2 shown]
	v_cmp_lt_u64_e64 s[0:1], s[6:7], 56
	s_and_b64 s[0:1], s[0:1], exec
	s_cselect_b32 s9, s7, 0
	s_cselect_b32 s8, s6, 56
	v_cmp_gt_u64_e64 s[10:11], s[6:7], 7
	s_add_u32 s0, s4, 8
	s_addc_u32 s1, s5, 0
	s_and_b64 vcc, exec, s[10:11]
	s_cbranch_vccnz .LBB6_2504
; %bb.2501:                             ;   in Loop: Header=BB6_2500 Depth=1
	s_cmp_eq_u64 s[6:7], 0
	s_cbranch_scc1 .LBB6_2505
; %bb.2502:                             ;   in Loop: Header=BB6_2500 Depth=1
	s_lshl_b64 s[0:1], s[8:9], 3
	s_mov_b64 s[10:11], 0
	s_waitcnt vmcnt(0)
	v_mov_b64_e32 v[8:9], 0
	s_mov_b64 s[12:13], s[4:5]
.LBB6_2503:                             ;   Parent Loop BB6_2500 Depth=1
                                        ; =>  This Inner Loop Header: Depth=2
	global_load_ubyte v2, v29, s[12:13]
	s_waitcnt vmcnt(0)
	v_and_b32_e32 v28, 0xffff, v2
	v_lshlrev_b64 v[2:3], s10, v[28:29]
	s_add_u32 s10, s10, 8
	s_addc_u32 s11, s11, 0
	s_add_u32 s12, s12, 1
	s_addc_u32 s13, s13, 0
	v_or_b32_e32 v8, v2, v8
	s_cmp_lg_u32 s0, s10
	v_or_b32_e32 v9, v3, v9
	s_cbranch_scc1 .LBB6_2503
	s_branch .LBB6_2506
.LBB6_2504:                             ;   in Loop: Header=BB6_2500 Depth=1
	s_mov_b32 s14, 0
	s_branch .LBB6_2507
.LBB6_2505:                             ;   in Loop: Header=BB6_2500 Depth=1
	s_waitcnt vmcnt(0)
	v_mov_b64_e32 v[8:9], 0
.LBB6_2506:                             ;   in Loop: Header=BB6_2500 Depth=1
	s_mov_b64 s[0:1], s[4:5]
	s_mov_b32 s14, 0
	s_cbranch_execnz .LBB6_2508
.LBB6_2507:                             ;   in Loop: Header=BB6_2500 Depth=1
	global_load_dwordx2 v[8:9], v29, s[4:5]
	s_add_i32 s14, s8, -8
.LBB6_2508:                             ;   in Loop: Header=BB6_2500 Depth=1
	s_add_u32 s10, s0, 8
	s_addc_u32 s11, s1, 0
	s_cmp_gt_u32 s14, 7
	s_cbranch_scc1 .LBB6_2512
; %bb.2509:                             ;   in Loop: Header=BB6_2500 Depth=1
	s_cmp_eq_u32 s14, 0
	s_cbranch_scc1 .LBB6_2513
; %bb.2510:                             ;   in Loop: Header=BB6_2500 Depth=1
	s_mov_b64 s[10:11], 0
	v_mov_b64_e32 v[10:11], 0
	s_mov_b64 s[12:13], 0
.LBB6_2511:                             ;   Parent Loop BB6_2500 Depth=1
                                        ; =>  This Inner Loop Header: Depth=2
	s_add_u32 s16, s0, s12
	s_addc_u32 s17, s1, s13
	global_load_ubyte v2, v29, s[16:17]
	s_add_u32 s12, s12, 1
	s_addc_u32 s13, s13, 0
	s_waitcnt vmcnt(0)
	v_and_b32_e32 v28, 0xffff, v2
	v_lshlrev_b64 v[2:3], s10, v[28:29]
	s_add_u32 s10, s10, 8
	s_addc_u32 s11, s11, 0
	v_or_b32_e32 v10, v2, v10
	s_cmp_lg_u32 s14, s12
	v_or_b32_e32 v11, v3, v11
	s_cbranch_scc1 .LBB6_2511
	s_branch .LBB6_2514
.LBB6_2512:                             ;   in Loop: Header=BB6_2500 Depth=1
                                        ; implicit-def: $vgpr10_vgpr11
	s_mov_b32 s15, 0
	s_branch .LBB6_2515
.LBB6_2513:                             ;   in Loop: Header=BB6_2500 Depth=1
	v_mov_b64_e32 v[10:11], 0
.LBB6_2514:                             ;   in Loop: Header=BB6_2500 Depth=1
	s_mov_b64 s[10:11], s[0:1]
	s_mov_b32 s15, 0
	s_cbranch_execnz .LBB6_2516
.LBB6_2515:                             ;   in Loop: Header=BB6_2500 Depth=1
	global_load_dwordx2 v[10:11], v29, s[0:1]
	s_add_i32 s15, s14, -8
.LBB6_2516:                             ;   in Loop: Header=BB6_2500 Depth=1
	s_add_u32 s0, s10, 8
	s_addc_u32 s1, s11, 0
	s_cmp_gt_u32 s15, 7
	s_cbranch_scc1 .LBB6_2520
; %bb.2517:                             ;   in Loop: Header=BB6_2500 Depth=1
	s_cmp_eq_u32 s15, 0
	s_cbranch_scc1 .LBB6_2521
; %bb.2518:                             ;   in Loop: Header=BB6_2500 Depth=1
	s_mov_b64 s[0:1], 0
	v_mov_b64_e32 v[12:13], 0
	s_mov_b64 s[12:13], 0
.LBB6_2519:                             ;   Parent Loop BB6_2500 Depth=1
                                        ; =>  This Inner Loop Header: Depth=2
	s_add_u32 s16, s10, s12
	s_addc_u32 s17, s11, s13
	global_load_ubyte v2, v29, s[16:17]
	s_add_u32 s12, s12, 1
	s_addc_u32 s13, s13, 0
	s_waitcnt vmcnt(0)
	v_and_b32_e32 v28, 0xffff, v2
	v_lshlrev_b64 v[2:3], s0, v[28:29]
	s_add_u32 s0, s0, 8
	s_addc_u32 s1, s1, 0
	v_or_b32_e32 v12, v2, v12
	s_cmp_lg_u32 s15, s12
	v_or_b32_e32 v13, v3, v13
	s_cbranch_scc1 .LBB6_2519
	s_branch .LBB6_2522
.LBB6_2520:                             ;   in Loop: Header=BB6_2500 Depth=1
	s_mov_b32 s14, 0
	s_branch .LBB6_2523
.LBB6_2521:                             ;   in Loop: Header=BB6_2500 Depth=1
	v_mov_b64_e32 v[12:13], 0
.LBB6_2522:                             ;   in Loop: Header=BB6_2500 Depth=1
	s_mov_b64 s[0:1], s[10:11]
	s_mov_b32 s14, 0
	s_cbranch_execnz .LBB6_2524
.LBB6_2523:                             ;   in Loop: Header=BB6_2500 Depth=1
	global_load_dwordx2 v[12:13], v29, s[10:11]
	s_add_i32 s14, s15, -8
.LBB6_2524:                             ;   in Loop: Header=BB6_2500 Depth=1
	s_add_u32 s10, s0, 8
	s_addc_u32 s11, s1, 0
	s_cmp_gt_u32 s14, 7
	s_cbranch_scc1 .LBB6_2528
; %bb.2525:                             ;   in Loop: Header=BB6_2500 Depth=1
	s_cmp_eq_u32 s14, 0
	s_cbranch_scc1 .LBB6_2529
; %bb.2526:                             ;   in Loop: Header=BB6_2500 Depth=1
	s_mov_b64 s[10:11], 0
	v_mov_b64_e32 v[14:15], 0
	s_mov_b64 s[12:13], 0
.LBB6_2527:                             ;   Parent Loop BB6_2500 Depth=1
                                        ; =>  This Inner Loop Header: Depth=2
	s_add_u32 s16, s0, s12
	s_addc_u32 s17, s1, s13
	global_load_ubyte v2, v29, s[16:17]
	s_add_u32 s12, s12, 1
	s_addc_u32 s13, s13, 0
	s_waitcnt vmcnt(0)
	v_and_b32_e32 v28, 0xffff, v2
	v_lshlrev_b64 v[2:3], s10, v[28:29]
	s_add_u32 s10, s10, 8
	s_addc_u32 s11, s11, 0
	v_or_b32_e32 v14, v2, v14
	s_cmp_lg_u32 s14, s12
	v_or_b32_e32 v15, v3, v15
	s_cbranch_scc1 .LBB6_2527
	s_branch .LBB6_2530
.LBB6_2528:                             ;   in Loop: Header=BB6_2500 Depth=1
                                        ; implicit-def: $vgpr14_vgpr15
	s_mov_b32 s15, 0
	s_branch .LBB6_2531
.LBB6_2529:                             ;   in Loop: Header=BB6_2500 Depth=1
	v_mov_b64_e32 v[14:15], 0
.LBB6_2530:                             ;   in Loop: Header=BB6_2500 Depth=1
	s_mov_b64 s[10:11], s[0:1]
	s_mov_b32 s15, 0
	s_cbranch_execnz .LBB6_2532
.LBB6_2531:                             ;   in Loop: Header=BB6_2500 Depth=1
	global_load_dwordx2 v[14:15], v29, s[0:1]
	s_add_i32 s15, s14, -8
.LBB6_2532:                             ;   in Loop: Header=BB6_2500 Depth=1
	s_add_u32 s0, s10, 8
	s_addc_u32 s1, s11, 0
	s_cmp_gt_u32 s15, 7
	s_cbranch_scc1 .LBB6_2536
; %bb.2533:                             ;   in Loop: Header=BB6_2500 Depth=1
	s_cmp_eq_u32 s15, 0
	s_cbranch_scc1 .LBB6_2537
; %bb.2534:                             ;   in Loop: Header=BB6_2500 Depth=1
	s_mov_b64 s[0:1], 0
	v_mov_b64_e32 v[16:17], 0
	s_mov_b64 s[12:13], 0
.LBB6_2535:                             ;   Parent Loop BB6_2500 Depth=1
                                        ; =>  This Inner Loop Header: Depth=2
	s_add_u32 s16, s10, s12
	s_addc_u32 s17, s11, s13
	global_load_ubyte v2, v29, s[16:17]
	s_add_u32 s12, s12, 1
	s_addc_u32 s13, s13, 0
	s_waitcnt vmcnt(0)
	v_and_b32_e32 v28, 0xffff, v2
	v_lshlrev_b64 v[2:3], s0, v[28:29]
	s_add_u32 s0, s0, 8
	s_addc_u32 s1, s1, 0
	v_or_b32_e32 v16, v2, v16
	s_cmp_lg_u32 s15, s12
	v_or_b32_e32 v17, v3, v17
	s_cbranch_scc1 .LBB6_2535
	s_branch .LBB6_2538
.LBB6_2536:                             ;   in Loop: Header=BB6_2500 Depth=1
	s_mov_b32 s14, 0
	s_branch .LBB6_2539
.LBB6_2537:                             ;   in Loop: Header=BB6_2500 Depth=1
	v_mov_b64_e32 v[16:17], 0
.LBB6_2538:                             ;   in Loop: Header=BB6_2500 Depth=1
	s_mov_b64 s[0:1], s[10:11]
	s_mov_b32 s14, 0
	s_cbranch_execnz .LBB6_2540
.LBB6_2539:                             ;   in Loop: Header=BB6_2500 Depth=1
	global_load_dwordx2 v[16:17], v29, s[10:11]
	s_add_i32 s14, s15, -8
.LBB6_2540:                             ;   in Loop: Header=BB6_2500 Depth=1
	s_add_u32 s10, s0, 8
	s_addc_u32 s11, s1, 0
	s_cmp_gt_u32 s14, 7
	s_cbranch_scc1 .LBB6_2544
; %bb.2541:                             ;   in Loop: Header=BB6_2500 Depth=1
	s_cmp_eq_u32 s14, 0
	s_cbranch_scc1 .LBB6_2545
; %bb.2542:                             ;   in Loop: Header=BB6_2500 Depth=1
	s_mov_b64 s[10:11], 0
	v_mov_b64_e32 v[18:19], 0
	s_mov_b64 s[12:13], 0
.LBB6_2543:                             ;   Parent Loop BB6_2500 Depth=1
                                        ; =>  This Inner Loop Header: Depth=2
	s_add_u32 s16, s0, s12
	s_addc_u32 s17, s1, s13
	global_load_ubyte v2, v29, s[16:17]
	s_add_u32 s12, s12, 1
	s_addc_u32 s13, s13, 0
	s_waitcnt vmcnt(0)
	v_and_b32_e32 v28, 0xffff, v2
	v_lshlrev_b64 v[2:3], s10, v[28:29]
	s_add_u32 s10, s10, 8
	s_addc_u32 s11, s11, 0
	v_or_b32_e32 v18, v2, v18
	s_cmp_lg_u32 s14, s12
	v_or_b32_e32 v19, v3, v19
	s_cbranch_scc1 .LBB6_2543
	s_branch .LBB6_2546
.LBB6_2544:                             ;   in Loop: Header=BB6_2500 Depth=1
                                        ; implicit-def: $vgpr18_vgpr19
	s_mov_b32 s15, 0
	s_branch .LBB6_2547
.LBB6_2545:                             ;   in Loop: Header=BB6_2500 Depth=1
	v_mov_b64_e32 v[18:19], 0
.LBB6_2546:                             ;   in Loop: Header=BB6_2500 Depth=1
	s_mov_b64 s[10:11], s[0:1]
	s_mov_b32 s15, 0
	s_cbranch_execnz .LBB6_2548
.LBB6_2547:                             ;   in Loop: Header=BB6_2500 Depth=1
	global_load_dwordx2 v[18:19], v29, s[0:1]
	s_add_i32 s15, s14, -8
.LBB6_2548:                             ;   in Loop: Header=BB6_2500 Depth=1
	s_cmp_gt_u32 s15, 7
	s_cbranch_scc1 .LBB6_2552
; %bb.2549:                             ;   in Loop: Header=BB6_2500 Depth=1
	s_cmp_eq_u32 s15, 0
	s_cbranch_scc1 .LBB6_2553
; %bb.2550:                             ;   in Loop: Header=BB6_2500 Depth=1
	s_mov_b64 s[0:1], 0
	v_mov_b64_e32 v[20:21], 0
	s_mov_b64 s[12:13], s[10:11]
.LBB6_2551:                             ;   Parent Loop BB6_2500 Depth=1
                                        ; =>  This Inner Loop Header: Depth=2
	global_load_ubyte v2, v29, s[12:13]
	s_add_i32 s15, s15, -1
	s_waitcnt vmcnt(0)
	v_and_b32_e32 v28, 0xffff, v2
	v_lshlrev_b64 v[2:3], s0, v[28:29]
	s_add_u32 s0, s0, 8
	s_addc_u32 s1, s1, 0
	s_add_u32 s12, s12, 1
	s_addc_u32 s13, s13, 0
	v_or_b32_e32 v20, v2, v20
	s_cmp_lg_u32 s15, 0
	v_or_b32_e32 v21, v3, v21
	s_cbranch_scc1 .LBB6_2551
	s_branch .LBB6_2554
.LBB6_2552:                             ;   in Loop: Header=BB6_2500 Depth=1
	s_branch .LBB6_2555
.LBB6_2553:                             ;   in Loop: Header=BB6_2500 Depth=1
	v_mov_b64_e32 v[20:21], 0
.LBB6_2554:                             ;   in Loop: Header=BB6_2500 Depth=1
	s_cbranch_execnz .LBB6_2556
.LBB6_2555:                             ;   in Loop: Header=BB6_2500 Depth=1
	global_load_dwordx2 v[20:21], v29, s[10:11]
.LBB6_2556:                             ;   in Loop: Header=BB6_2500 Depth=1
	v_readfirstlane_b32 s0, v32
	v_mov_b64_e32 v[2:3], 0
	s_nop 0
	v_cmp_eq_u32_e64 s[0:1], s0, v32
	s_and_saveexec_b64 s[10:11], s[0:1]
	s_cbranch_execz .LBB6_2562
; %bb.2557:                             ;   in Loop: Header=BB6_2500 Depth=1
	global_load_dwordx2 v[24:25], v29, s[2:3] offset:24 sc0 sc1
	s_waitcnt vmcnt(0)
	buffer_inv sc0 sc1
	global_load_dwordx2 v[2:3], v29, s[2:3] offset:40
	global_load_dwordx2 v[22:23], v29, s[2:3]
	s_waitcnt vmcnt(1)
	v_and_b32_e32 v2, v2, v24
	v_and_b32_e32 v3, v3, v25
	v_mul_lo_u32 v3, v3, 24
	v_mul_hi_u32 v27, v2, 24
	v_add_u32_e32 v3, v27, v3
	v_mul_lo_u32 v2, v2, 24
	s_waitcnt vmcnt(0)
	v_lshl_add_u64 v[2:3], v[22:23], 0, v[2:3]
	global_load_dwordx2 v[22:23], v[2:3], off sc0 sc1
	s_waitcnt vmcnt(0)
	global_atomic_cmpswap_x2 v[2:3], v29, v[22:25], s[2:3] offset:24 sc0 sc1
	s_waitcnt vmcnt(0)
	buffer_inv sc0 sc1
	v_cmp_ne_u64_e32 vcc, v[2:3], v[24:25]
	s_and_saveexec_b64 s[12:13], vcc
	s_cbranch_execz .LBB6_2561
; %bb.2558:                             ;   in Loop: Header=BB6_2500 Depth=1
	s_mov_b64 s[14:15], 0
.LBB6_2559:                             ;   Parent Loop BB6_2500 Depth=1
                                        ; =>  This Inner Loop Header: Depth=2
	s_sleep 1
	global_load_dwordx2 v[22:23], v29, s[2:3] offset:40
	global_load_dwordx2 v[30:31], v29, s[2:3]
	v_mov_b64_e32 v[24:25], v[2:3]
	s_waitcnt vmcnt(1)
	v_and_b32_e32 v2, v22, v24
	s_waitcnt vmcnt(0)
	v_mad_u64_u32 v[2:3], s[16:17], v2, 24, v[30:31]
	v_and_b32_e32 v23, v23, v25
	v_mov_b32_e32 v22, v3
	v_mad_u64_u32 v[22:23], s[16:17], v23, 24, v[22:23]
	v_mov_b32_e32 v3, v22
	global_load_dwordx2 v[22:23], v[2:3], off sc0 sc1
	s_waitcnt vmcnt(0)
	global_atomic_cmpswap_x2 v[2:3], v29, v[22:25], s[2:3] offset:24 sc0 sc1
	s_waitcnt vmcnt(0)
	buffer_inv sc0 sc1
	v_cmp_eq_u64_e32 vcc, v[2:3], v[24:25]
	s_or_b64 s[14:15], vcc, s[14:15]
	s_andn2_b64 exec, exec, s[14:15]
	s_cbranch_execnz .LBB6_2559
; %bb.2560:                             ;   in Loop: Header=BB6_2500 Depth=1
	s_or_b64 exec, exec, s[14:15]
.LBB6_2561:                             ;   in Loop: Header=BB6_2500 Depth=1
	s_or_b64 exec, exec, s[12:13]
.LBB6_2562:                             ;   in Loop: Header=BB6_2500 Depth=1
	s_or_b64 exec, exec, s[10:11]
	global_load_dwordx2 v[30:31], v29, s[2:3] offset:40
	global_load_dwordx4 v[22:25], v29, s[2:3]
	v_readfirstlane_b32 s11, v3
	v_readfirstlane_b32 s10, v2
	s_mov_b64 s[12:13], exec
	s_waitcnt vmcnt(1)
	v_readfirstlane_b32 s14, v30
	v_readfirstlane_b32 s15, v31
	s_and_b64 s[14:15], s[14:15], s[10:11]
	s_mul_i32 s16, s15, 24
	s_mul_hi_u32 s17, s14, 24
	s_add_i32 s17, s17, s16
	s_mul_i32 s16, s14, 24
	s_waitcnt vmcnt(0)
	v_lshl_add_u64 v[30:31], v[22:23], 0, s[16:17]
	s_and_saveexec_b64 s[16:17], s[0:1]
	s_cbranch_execz .LBB6_2564
; %bb.2563:                             ;   in Loop: Header=BB6_2500 Depth=1
	v_mov_b64_e32 v[2:3], s[12:13]
	global_store_dwordx4 v[30:31], v[2:5], off offset:8
.LBB6_2564:                             ;   in Loop: Header=BB6_2500 Depth=1
	s_or_b64 exec, exec, s[16:17]
	s_lshl_b64 s[12:13], s[14:15], 12
	v_lshl_add_u64 v[2:3], v[24:25], 0, s[12:13]
	v_cmp_gt_u64_e64 s[12:13], s[6:7], 56
	s_and_b64 s[12:13], s[12:13], exec
	s_cselect_b32 s12, 0, 2
	s_lshl_b32 s13, s8, 2
	s_add_i32 s13, s13, 28
	v_and_b32_e32 v6, 0xffffff1f, v6
	s_and_b32 s13, s13, 0x1e0
	v_or_b32_e32 v6, s12, v6
	v_or_b32_e32 v6, s13, v6
	v_readfirstlane_b32 s12, v2
	v_readfirstlane_b32 s13, v3
	s_nop 4
	global_store_dwordx4 v26, v[6:9], s[12:13]
	global_store_dwordx4 v26, v[10:13], s[12:13] offset:16
	global_store_dwordx4 v26, v[14:17], s[12:13] offset:32
	global_store_dwordx4 v26, v[18:21], s[12:13] offset:48
	s_and_saveexec_b64 s[12:13], s[0:1]
	s_cbranch_execz .LBB6_2572
; %bb.2565:                             ;   in Loop: Header=BB6_2500 Depth=1
	global_load_dwordx2 v[14:15], v29, s[2:3] offset:32 sc0 sc1
	global_load_dwordx2 v[6:7], v29, s[2:3] offset:40
	v_mov_b32_e32 v12, s10
	v_mov_b32_e32 v13, s11
	s_waitcnt vmcnt(0)
	v_readfirstlane_b32 s14, v6
	v_readfirstlane_b32 s15, v7
	s_and_b64 s[14:15], s[14:15], s[10:11]
	s_mul_i32 s15, s15, 24
	s_mul_hi_u32 s16, s14, 24
	s_mul_i32 s14, s14, 24
	s_add_i32 s15, s16, s15
	v_lshl_add_u64 v[10:11], v[22:23], 0, s[14:15]
	global_store_dwordx2 v[10:11], v[14:15], off
	buffer_wbl2 sc0 sc1
	s_waitcnt vmcnt(0)
	global_atomic_cmpswap_x2 v[8:9], v29, v[12:15], s[2:3] offset:32 sc0 sc1
	s_waitcnt vmcnt(0)
	v_cmp_ne_u64_e32 vcc, v[8:9], v[14:15]
	s_and_saveexec_b64 s[14:15], vcc
	s_cbranch_execz .LBB6_2568
; %bb.2566:                             ;   in Loop: Header=BB6_2500 Depth=1
	s_mov_b64 s[16:17], 0
.LBB6_2567:                             ;   Parent Loop BB6_2500 Depth=1
                                        ; =>  This Inner Loop Header: Depth=2
	s_sleep 1
	global_store_dwordx2 v[10:11], v[8:9], off
	v_mov_b32_e32 v6, s10
	v_mov_b32_e32 v7, s11
	buffer_wbl2 sc0 sc1
	s_waitcnt vmcnt(0)
	global_atomic_cmpswap_x2 v[6:7], v29, v[6:9], s[2:3] offset:32 sc0 sc1
	s_waitcnt vmcnt(0)
	v_cmp_eq_u64_e32 vcc, v[6:7], v[8:9]
	s_or_b64 s[16:17], vcc, s[16:17]
	v_mov_b64_e32 v[8:9], v[6:7]
	s_andn2_b64 exec, exec, s[16:17]
	s_cbranch_execnz .LBB6_2567
.LBB6_2568:                             ;   in Loop: Header=BB6_2500 Depth=1
	s_or_b64 exec, exec, s[14:15]
	global_load_dwordx2 v[6:7], v29, s[2:3] offset:16
	s_mov_b64 s[16:17], exec
	v_mbcnt_lo_u32_b32 v8, s16, 0
	v_mbcnt_hi_u32_b32 v8, s17, v8
	v_cmp_eq_u32_e32 vcc, 0, v8
	s_and_saveexec_b64 s[14:15], vcc
	s_cbranch_execz .LBB6_2570
; %bb.2569:                             ;   in Loop: Header=BB6_2500 Depth=1
	s_bcnt1_i32_b64 s16, s[16:17]
	v_mov_b32_e32 v28, s16
	buffer_wbl2 sc0 sc1
	s_waitcnt vmcnt(0)
	global_atomic_add_x2 v[6:7], v[28:29], off offset:8 sc1
.LBB6_2570:                             ;   in Loop: Header=BB6_2500 Depth=1
	s_or_b64 exec, exec, s[14:15]
	s_waitcnt vmcnt(0)
	global_load_dwordx2 v[8:9], v[6:7], off offset:16
	s_waitcnt vmcnt(0)
	v_cmp_eq_u64_e32 vcc, 0, v[8:9]
	s_cbranch_vccnz .LBB6_2572
; %bb.2571:                             ;   in Loop: Header=BB6_2500 Depth=1
	global_load_dword v28, v[6:7], off offset:24
	s_waitcnt vmcnt(0)
	v_readfirstlane_b32 s14, v28
	s_and_b32 m0, s14, 0xffffff
	buffer_wbl2 sc0 sc1
	global_store_dwordx2 v[8:9], v[28:29], off sc0 sc1
	s_sendmsg sendmsg(MSG_INTERRUPT)
.LBB6_2572:                             ;   in Loop: Header=BB6_2500 Depth=1
	s_or_b64 exec, exec, s[12:13]
	v_mov_b32_e32 v27, v29
	v_lshl_add_u64 v[2:3], v[2:3], 0, v[26:27]
	s_branch .LBB6_2576
.LBB6_2573:                             ;   in Loop: Header=BB6_2576 Depth=2
	s_or_b64 exec, exec, s[12:13]
	v_readfirstlane_b32 s12, v6
	s_cmp_eq_u32 s12, 0
	s_cbranch_scc1 .LBB6_2575
; %bb.2574:                             ;   in Loop: Header=BB6_2576 Depth=2
	s_sleep 1
	s_cbranch_execnz .LBB6_2576
	s_branch .LBB6_2578
.LBB6_2575:                             ;   in Loop: Header=BB6_2500 Depth=1
	s_branch .LBB6_2578
.LBB6_2576:                             ;   Parent Loop BB6_2500 Depth=1
                                        ; =>  This Inner Loop Header: Depth=2
	v_mov_b32_e32 v6, 1
	s_and_saveexec_b64 s[12:13], s[0:1]
	s_cbranch_execz .LBB6_2573
; %bb.2577:                             ;   in Loop: Header=BB6_2576 Depth=2
	global_load_dword v6, v[30:31], off offset:20 sc0 sc1
	s_waitcnt vmcnt(0)
	buffer_inv sc0 sc1
	v_and_b32_e32 v6, 1, v6
	s_branch .LBB6_2573
.LBB6_2578:                             ;   in Loop: Header=BB6_2500 Depth=1
	global_load_dwordx4 v[6:9], v[2:3], off
	s_and_saveexec_b64 s[12:13], s[0:1]
	s_cbranch_execz .LBB6_2499
; %bb.2579:                             ;   in Loop: Header=BB6_2500 Depth=1
	global_load_dwordx2 v[2:3], v29, s[2:3] offset:40
	global_load_dwordx2 v[12:13], v29, s[2:3] offset:24 sc0 sc1
	global_load_dwordx2 v[8:9], v29, s[2:3]
	s_waitcnt vmcnt(2)
	v_readfirstlane_b32 s14, v2
	v_readfirstlane_b32 s15, v3
	s_add_u32 s16, s14, 1
	s_addc_u32 s17, s15, 0
	s_add_u32 s0, s16, s10
	s_addc_u32 s1, s17, s11
	s_cmp_eq_u64 s[0:1], 0
	s_cselect_b32 s1, s17, s1
	s_cselect_b32 s0, s16, s0
	s_and_b64 s[10:11], s[0:1], s[14:15]
	s_mul_i32 s11, s11, 24
	s_mul_hi_u32 s14, s10, 24
	s_mul_i32 s10, s10, 24
	s_add_i32 s11, s14, s11
	s_waitcnt vmcnt(0)
	v_lshl_add_u64 v[2:3], v[8:9], 0, s[10:11]
	v_mov_b32_e32 v10, s0
	global_store_dwordx2 v[2:3], v[12:13], off
	v_mov_b32_e32 v11, s1
	buffer_wbl2 sc0 sc1
	s_waitcnt vmcnt(0)
	global_atomic_cmpswap_x2 v[10:11], v29, v[10:13], s[2:3] offset:24 sc0 sc1
	s_waitcnt vmcnt(0)
	v_cmp_ne_u64_e32 vcc, v[10:11], v[12:13]
	s_and_b64 exec, exec, vcc
	s_cbranch_execz .LBB6_2499
; %bb.2580:                             ;   in Loop: Header=BB6_2500 Depth=1
	s_mov_b64 s[10:11], 0
.LBB6_2581:                             ;   Parent Loop BB6_2500 Depth=1
                                        ; =>  This Inner Loop Header: Depth=2
	s_sleep 1
	global_store_dwordx2 v[2:3], v[10:11], off
	v_mov_b32_e32 v8, s0
	v_mov_b32_e32 v9, s1
	buffer_wbl2 sc0 sc1
	s_waitcnt vmcnt(0)
	global_atomic_cmpswap_x2 v[8:9], v29, v[8:11], s[2:3] offset:24 sc0 sc1
	s_waitcnt vmcnt(0)
	v_cmp_eq_u64_e32 vcc, v[8:9], v[10:11]
	s_or_b64 s[10:11], vcc, s[10:11]
	v_mov_b64_e32 v[10:11], v[8:9]
	s_andn2_b64 exec, exec, s[10:11]
	s_cbranch_execnz .LBB6_2581
	s_branch .LBB6_2499
.LBB6_2582:
	s_mov_b64 s[0:1], 0
	s_branch .LBB6_2584
.LBB6_2583:
	s_mov_b64 s[0:1], -1
.LBB6_2584:
	s_and_b64 vcc, exec, s[0:1]
	s_cbranch_vccz .LBB6_2611
; %bb.2585:
	v_readfirstlane_b32 s0, v32
	s_waitcnt vmcnt(0)
	v_mov_b64_e32 v[8:9], 0
	v_cmp_eq_u32_e64 s[0:1], s0, v32
	s_and_saveexec_b64 s[4:5], s[0:1]
	s_cbranch_execz .LBB6_2591
; %bb.2586:
	v_mov_b32_e32 v2, 0
	global_load_dwordx2 v[6:7], v2, s[2:3] offset:24 sc0 sc1
	s_waitcnt vmcnt(0)
	buffer_inv sc0 sc1
	global_load_dwordx2 v[4:5], v2, s[2:3] offset:40
	global_load_dwordx2 v[8:9], v2, s[2:3]
	s_waitcnt vmcnt(1)
	v_and_b32_e32 v3, v4, v6
	v_and_b32_e32 v4, v5, v7
	v_mul_lo_u32 v4, v4, 24
	v_mul_hi_u32 v5, v3, 24
	v_add_u32_e32 v5, v5, v4
	v_mul_lo_u32 v4, v3, 24
	s_waitcnt vmcnt(0)
	v_lshl_add_u64 v[4:5], v[8:9], 0, v[4:5]
	global_load_dwordx2 v[4:5], v[4:5], off sc0 sc1
	s_waitcnt vmcnt(0)
	global_atomic_cmpswap_x2 v[8:9], v2, v[4:7], s[2:3] offset:24 sc0 sc1
	s_waitcnt vmcnt(0)
	buffer_inv sc0 sc1
	v_cmp_ne_u64_e32 vcc, v[8:9], v[6:7]
	s_and_saveexec_b64 s[6:7], vcc
	s_cbranch_execz .LBB6_2590
; %bb.2587:
	s_mov_b64 s[8:9], 0
.LBB6_2588:                             ; =>This Inner Loop Header: Depth=1
	s_sleep 1
	global_load_dwordx2 v[4:5], v2, s[2:3] offset:40
	global_load_dwordx2 v[10:11], v2, s[2:3]
	v_mov_b64_e32 v[6:7], v[8:9]
	s_waitcnt vmcnt(1)
	v_and_b32_e32 v4, v4, v6
	v_and_b32_e32 v3, v5, v7
	s_waitcnt vmcnt(0)
	v_mad_u64_u32 v[4:5], s[10:11], v4, 24, v[10:11]
	v_mov_b32_e32 v8, v5
	v_mad_u64_u32 v[8:9], s[10:11], v3, 24, v[8:9]
	v_mov_b32_e32 v5, v8
	global_load_dwordx2 v[4:5], v[4:5], off sc0 sc1
	s_waitcnt vmcnt(0)
	global_atomic_cmpswap_x2 v[8:9], v2, v[4:7], s[2:3] offset:24 sc0 sc1
	s_waitcnt vmcnt(0)
	buffer_inv sc0 sc1
	v_cmp_eq_u64_e32 vcc, v[8:9], v[6:7]
	s_or_b64 s[8:9], vcc, s[8:9]
	s_andn2_b64 exec, exec, s[8:9]
	s_cbranch_execnz .LBB6_2588
; %bb.2589:
	s_or_b64 exec, exec, s[8:9]
.LBB6_2590:
	s_or_b64 exec, exec, s[6:7]
.LBB6_2591:
	s_or_b64 exec, exec, s[4:5]
	v_mov_b32_e32 v2, 0
	global_load_dwordx2 v[10:11], v2, s[2:3] offset:40
	global_load_dwordx4 v[4:7], v2, s[2:3]
	v_readfirstlane_b32 s5, v9
	v_readfirstlane_b32 s4, v8
	s_mov_b64 s[6:7], exec
	s_waitcnt vmcnt(1)
	v_readfirstlane_b32 s8, v10
	v_readfirstlane_b32 s9, v11
	s_and_b64 s[8:9], s[8:9], s[4:5]
	s_mul_i32 s10, s9, 24
	s_mul_hi_u32 s11, s8, 24
	s_add_i32 s11, s11, s10
	s_mul_i32 s10, s8, 24
	s_waitcnt vmcnt(0)
	v_lshl_add_u64 v[8:9], v[4:5], 0, s[10:11]
	s_and_saveexec_b64 s[10:11], s[0:1]
	s_cbranch_execz .LBB6_2593
; %bb.2592:
	v_mov_b64_e32 v[10:11], s[6:7]
	v_mov_b32_e32 v12, 2
	v_mov_b32_e32 v13, 1
	global_store_dwordx4 v[8:9], v[10:13], off offset:8
.LBB6_2593:
	s_or_b64 exec, exec, s[10:11]
	s_lshl_b64 s[6:7], s[8:9], 12
	v_lshl_add_u64 v[6:7], v[6:7], 0, s[6:7]
	s_movk_i32 s6, 0xff1d
	s_mov_b32 s8, 0
	v_and_or_b32 v0, v0, s6, 34
	v_mov_b32_e32 v3, v2
	v_readfirstlane_b32 s6, v6
	v_readfirstlane_b32 s7, v7
	s_mov_b32 s9, s8
	s_mov_b32 s10, s8
	;; [unrolled: 1-line block ×3, first 2 shown]
	s_nop 1
	global_store_dwordx4 v26, v[0:3], s[6:7]
	s_nop 1
	v_mov_b64_e32 v[0:1], s[8:9]
	v_mov_b64_e32 v[2:3], s[10:11]
	global_store_dwordx4 v26, v[0:3], s[6:7] offset:16
	global_store_dwordx4 v26, v[0:3], s[6:7] offset:32
	;; [unrolled: 1-line block ×3, first 2 shown]
	s_and_saveexec_b64 s[6:7], s[0:1]
	s_cbranch_execz .LBB6_2601
; %bb.2594:
	v_mov_b32_e32 v6, 0
	global_load_dwordx2 v[12:13], v6, s[2:3] offset:32 sc0 sc1
	global_load_dwordx2 v[0:1], v6, s[2:3] offset:40
	v_mov_b32_e32 v10, s4
	v_mov_b32_e32 v11, s5
	s_waitcnt vmcnt(0)
	v_readfirstlane_b32 s8, v0
	v_readfirstlane_b32 s9, v1
	s_and_b64 s[8:9], s[8:9], s[4:5]
	s_mul_i32 s9, s9, 24
	s_mul_hi_u32 s10, s8, 24
	s_mul_i32 s8, s8, 24
	s_add_i32 s9, s10, s9
	v_lshl_add_u64 v[4:5], v[4:5], 0, s[8:9]
	global_store_dwordx2 v[4:5], v[12:13], off
	buffer_wbl2 sc0 sc1
	s_waitcnt vmcnt(0)
	global_atomic_cmpswap_x2 v[2:3], v6, v[10:13], s[2:3] offset:32 sc0 sc1
	s_waitcnt vmcnt(0)
	v_cmp_ne_u64_e32 vcc, v[2:3], v[12:13]
	s_and_saveexec_b64 s[8:9], vcc
	s_cbranch_execz .LBB6_2597
; %bb.2595:
	s_mov_b64 s[10:11], 0
.LBB6_2596:                             ; =>This Inner Loop Header: Depth=1
	s_sleep 1
	global_store_dwordx2 v[4:5], v[2:3], off
	v_mov_b32_e32 v0, s4
	v_mov_b32_e32 v1, s5
	buffer_wbl2 sc0 sc1
	s_waitcnt vmcnt(0)
	global_atomic_cmpswap_x2 v[0:1], v6, v[0:3], s[2:3] offset:32 sc0 sc1
	s_waitcnt vmcnt(0)
	v_cmp_eq_u64_e32 vcc, v[0:1], v[2:3]
	s_or_b64 s[10:11], vcc, s[10:11]
	v_mov_b64_e32 v[2:3], v[0:1]
	s_andn2_b64 exec, exec, s[10:11]
	s_cbranch_execnz .LBB6_2596
.LBB6_2597:
	s_or_b64 exec, exec, s[8:9]
	v_mov_b32_e32 v3, 0
	global_load_dwordx2 v[0:1], v3, s[2:3] offset:16
	s_mov_b64 s[8:9], exec
	v_mbcnt_lo_u32_b32 v2, s8, 0
	v_mbcnt_hi_u32_b32 v2, s9, v2
	v_cmp_eq_u32_e32 vcc, 0, v2
	s_and_saveexec_b64 s[10:11], vcc
	s_cbranch_execz .LBB6_2599
; %bb.2598:
	s_bcnt1_i32_b64 s8, s[8:9]
	v_mov_b32_e32 v2, s8
	buffer_wbl2 sc0 sc1
	s_waitcnt vmcnt(0)
	global_atomic_add_x2 v[0:1], v[2:3], off offset:8 sc1
.LBB6_2599:
	s_or_b64 exec, exec, s[10:11]
	s_waitcnt vmcnt(0)
	global_load_dwordx2 v[2:3], v[0:1], off offset:16
	s_waitcnt vmcnt(0)
	v_cmp_eq_u64_e32 vcc, 0, v[2:3]
	s_cbranch_vccnz .LBB6_2601
; %bb.2600:
	global_load_dword v0, v[0:1], off offset:24
	v_mov_b32_e32 v1, 0
	s_waitcnt vmcnt(0)
	v_readfirstlane_b32 s8, v0
	s_and_b32 m0, s8, 0xffffff
	buffer_wbl2 sc0 sc1
	global_store_dwordx2 v[2:3], v[0:1], off sc0 sc1
	s_sendmsg sendmsg(MSG_INTERRUPT)
.LBB6_2601:
	s_or_b64 exec, exec, s[6:7]
	s_branch .LBB6_2605
.LBB6_2602:                             ;   in Loop: Header=BB6_2605 Depth=1
	s_or_b64 exec, exec, s[6:7]
	v_readfirstlane_b32 s6, v0
	s_cmp_eq_u32 s6, 0
	s_cbranch_scc1 .LBB6_2604
; %bb.2603:                             ;   in Loop: Header=BB6_2605 Depth=1
	s_sleep 1
	s_cbranch_execnz .LBB6_2605
	s_branch .LBB6_2607
.LBB6_2604:
	s_branch .LBB6_2607
.LBB6_2605:                             ; =>This Inner Loop Header: Depth=1
	v_mov_b32_e32 v0, 1
	s_and_saveexec_b64 s[6:7], s[0:1]
	s_cbranch_execz .LBB6_2602
; %bb.2606:                             ;   in Loop: Header=BB6_2605 Depth=1
	global_load_dword v0, v[8:9], off offset:20 sc0 sc1
	s_waitcnt vmcnt(0)
	buffer_inv sc0 sc1
	v_and_b32_e32 v0, 1, v0
	s_branch .LBB6_2602
.LBB6_2607:
	s_and_saveexec_b64 s[6:7], s[0:1]
	s_cbranch_execz .LBB6_2610
; %bb.2608:
	v_mov_b32_e32 v6, 0
	global_load_dwordx2 v[0:1], v6, s[2:3] offset:40
	global_load_dwordx2 v[10:11], v6, s[2:3] offset:24 sc0 sc1
	global_load_dwordx2 v[2:3], v6, s[2:3]
	s_waitcnt vmcnt(2)
	v_readfirstlane_b32 s8, v0
	v_readfirstlane_b32 s9, v1
	s_add_u32 s10, s8, 1
	s_addc_u32 s11, s9, 0
	s_add_u32 s0, s10, s4
	s_addc_u32 s1, s11, s5
	s_cmp_eq_u64 s[0:1], 0
	s_cselect_b32 s1, s11, s1
	s_cselect_b32 s0, s10, s0
	s_and_b64 s[4:5], s[0:1], s[8:9]
	s_mul_i32 s5, s5, 24
	s_mul_hi_u32 s8, s4, 24
	s_mul_i32 s4, s4, 24
	s_add_i32 s5, s8, s5
	s_waitcnt vmcnt(0)
	v_lshl_add_u64 v[4:5], v[2:3], 0, s[4:5]
	v_mov_b32_e32 v8, s0
	global_store_dwordx2 v[4:5], v[10:11], off
	v_mov_b32_e32 v9, s1
	buffer_wbl2 sc0 sc1
	s_waitcnt vmcnt(0)
	global_atomic_cmpswap_x2 v[2:3], v6, v[8:11], s[2:3] offset:24 sc0 sc1
	s_mov_b64 s[4:5], 0
	s_waitcnt vmcnt(0)
	v_cmp_ne_u64_e32 vcc, v[2:3], v[10:11]
	s_and_b64 exec, exec, vcc
	s_cbranch_execz .LBB6_2610
.LBB6_2609:                             ; =>This Inner Loop Header: Depth=1
	s_sleep 1
	global_store_dwordx2 v[4:5], v[2:3], off
	v_mov_b32_e32 v0, s0
	v_mov_b32_e32 v1, s1
	buffer_wbl2 sc0 sc1
	s_waitcnt vmcnt(0)
	global_atomic_cmpswap_x2 v[0:1], v6, v[0:3], s[2:3] offset:24 sc0 sc1
	s_waitcnt vmcnt(0)
	v_cmp_eq_u64_e32 vcc, v[0:1], v[2:3]
	s_or_b64 s[4:5], vcc, s[4:5]
	v_mov_b64_e32 v[2:3], v[0:1]
	s_andn2_b64 exec, exec, s[4:5]
	s_cbranch_execnz .LBB6_2609
.LBB6_2610:
	s_or_b64 exec, exec, s[6:7]
.LBB6_2611:
	s_getpc_b64 s[0:1]
	s_add_u32 s0, s0, .str.29@rel32@lo+4
	s_addc_u32 s1, s1, .str.29@rel32@hi+12
	s_getpc_b64 s[2:3]
	s_add_u32 s2, s2, .str.19@rel32@lo+4
	s_addc_u32 s3, s3, .str.19@rel32@hi+12
	s_getpc_b64 s[4:5]
	s_add_u32 s4, s4, __PRETTY_FUNCTION__._ZN7VecsMemIjLi8192EE5fetchEi@rel32@lo+4
	s_addc_u32 s5, s5, __PRETTY_FUNCTION__._ZN7VecsMemIjLi8192EE5fetchEi@rel32@hi+12
	s_getpc_b64 s[6:7]
	s_add_u32 s6, s6, __assert_fail@rel32@lo+4
	s_addc_u32 s7, s7, __assert_fail@rel32@hi+12
	s_mov_b64 s[8:9], s[64:65]
	s_waitcnt vmcnt(0)
	v_mov_b32_e32 v0, s0
	v_mov_b32_e32 v1, s1
	;; [unrolled: 1-line block ×7, first 2 shown]
	s_swappc_b64 s[30:31], s[6:7]
	s_or_b64 s[44:45], s[44:45], exec
.LBB6_2612:
	s_or_b64 exec, exec, s[22:23]
	s_andn2_b64 s[0:1], s[26:27], exec
	s_and_b64 s[2:3], s[44:45], exec
	s_or_b64 s[26:27], s[0:1], s[2:3]
.LBB6_2613:
	s_or_b64 exec, exec, s[60:61]
	s_andn2_b64 s[0:1], s[24:25], exec
	s_and_b64 s[2:3], s[26:27], exec
	s_or_b64 s[24:25], s[0:1], s[2:3]
.LBB6_2614:
	s_or_b64 exec, exec, s[58:59]
	s_and_saveexec_b64 s[0:1], s[42:43]
	s_xor_b64 s[22:23], exec, s[0:1]
	s_cbranch_execz .LBB6_2755
; %bb.2615:
	s_load_dwordx2 s[2:3], s[64:65], 0x50
	v_mbcnt_lo_u32_b32 v0, -1, 0
	v_mbcnt_hi_u32_b32 v32, -1, v0
	v_mov_b64_e32 v[4:5], 0
	v_readfirstlane_b32 s0, v32
	s_nop 1
	v_cmp_eq_u32_e64 s[0:1], s0, v32
	s_and_saveexec_b64 s[4:5], s[0:1]
	s_cbranch_execz .LBB6_2621
; %bb.2616:
	v_mov_b32_e32 v0, 0
	s_waitcnt lgkmcnt(0)
	global_load_dwordx2 v[6:7], v0, s[2:3] offset:24 sc0 sc1
	s_waitcnt vmcnt(0)
	buffer_inv sc0 sc1
	global_load_dwordx2 v[2:3], v0, s[2:3] offset:40
	global_load_dwordx2 v[4:5], v0, s[2:3]
	s_waitcnt vmcnt(1)
	v_and_b32_e32 v1, v2, v6
	v_and_b32_e32 v2, v3, v7
	v_mul_lo_u32 v2, v2, 24
	v_mul_hi_u32 v3, v1, 24
	v_add_u32_e32 v3, v3, v2
	v_mul_lo_u32 v2, v1, 24
	s_waitcnt vmcnt(0)
	v_lshl_add_u64 v[2:3], v[4:5], 0, v[2:3]
	global_load_dwordx2 v[4:5], v[2:3], off sc0 sc1
	s_waitcnt vmcnt(0)
	global_atomic_cmpswap_x2 v[4:5], v0, v[4:7], s[2:3] offset:24 sc0 sc1
	s_waitcnt vmcnt(0)
	buffer_inv sc0 sc1
	v_cmp_ne_u64_e32 vcc, v[4:5], v[6:7]
	s_and_saveexec_b64 s[6:7], vcc
	s_cbranch_execz .LBB6_2620
; %bb.2617:
	s_mov_b64 s[8:9], 0
.LBB6_2618:                             ; =>This Inner Loop Header: Depth=1
	s_sleep 1
	global_load_dwordx2 v[2:3], v0, s[2:3] offset:40
	global_load_dwordx2 v[8:9], v0, s[2:3]
	v_mov_b64_e32 v[6:7], v[4:5]
	s_waitcnt vmcnt(1)
	v_and_b32_e32 v2, v2, v6
	v_and_b32_e32 v1, v3, v7
	s_waitcnt vmcnt(0)
	v_mad_u64_u32 v[2:3], s[10:11], v2, 24, v[8:9]
	v_mov_b32_e32 v4, v3
	v_mad_u64_u32 v[4:5], s[10:11], v1, 24, v[4:5]
	v_mov_b32_e32 v3, v4
	global_load_dwordx2 v[4:5], v[2:3], off sc0 sc1
	s_waitcnt vmcnt(0)
	global_atomic_cmpswap_x2 v[4:5], v0, v[4:7], s[2:3] offset:24 sc0 sc1
	s_waitcnt vmcnt(0)
	buffer_inv sc0 sc1
	v_cmp_eq_u64_e32 vcc, v[4:5], v[6:7]
	s_or_b64 s[8:9], vcc, s[8:9]
	s_andn2_b64 exec, exec, s[8:9]
	s_cbranch_execnz .LBB6_2618
; %bb.2619:
	s_or_b64 exec, exec, s[8:9]
.LBB6_2620:
	s_or_b64 exec, exec, s[6:7]
.LBB6_2621:
	s_or_b64 exec, exec, s[4:5]
	v_mov_b32_e32 v27, 0
	s_waitcnt lgkmcnt(0)
	global_load_dwordx2 v[6:7], v27, s[2:3] offset:40
	global_load_dwordx4 v[0:3], v27, s[2:3]
	v_readfirstlane_b32 s5, v5
	v_readfirstlane_b32 s4, v4
	s_mov_b64 s[6:7], exec
	s_waitcnt vmcnt(0)
	v_readfirstlane_b32 s8, v6
	v_readfirstlane_b32 s9, v7
	s_and_b64 s[8:9], s[8:9], s[4:5]
	s_mul_i32 s10, s9, 24
	s_mul_hi_u32 s11, s8, 24
	s_add_i32 s11, s11, s10
	s_mul_i32 s10, s8, 24
	v_lshl_add_u64 v[4:5], v[0:1], 0, s[10:11]
	s_and_saveexec_b64 s[10:11], s[0:1]
	s_cbranch_execz .LBB6_2623
; %bb.2622:
	v_mov_b64_e32 v[6:7], s[6:7]
	v_mov_b32_e32 v8, 2
	v_mov_b32_e32 v9, 1
	global_store_dwordx4 v[4:5], v[6:9], off offset:8
.LBB6_2623:
	s_or_b64 exec, exec, s[10:11]
	s_lshl_b64 s[6:7], s[8:9], 12
	v_lshl_add_u64 v[6:7], v[2:3], 0, s[6:7]
	s_mov_b32 s8, 0
	v_lshlrev_b32_e32 v26, 6, v32
	v_mov_b32_e32 v8, 33
	v_mov_b32_e32 v9, v27
	;; [unrolled: 1-line block ×4, first 2 shown]
	v_readfirstlane_b32 s6, v6
	v_readfirstlane_b32 s7, v7
	s_mov_b32 s9, s8
	s_mov_b32 s10, s8
	;; [unrolled: 1-line block ×3, first 2 shown]
	s_nop 1
	global_store_dwordx4 v26, v[8:11], s[6:7]
	s_nop 1
	v_mov_b64_e32 v[8:9], s[8:9]
	v_mov_b64_e32 v[10:11], s[10:11]
	global_store_dwordx4 v26, v[8:11], s[6:7] offset:16
	global_store_dwordx4 v26, v[8:11], s[6:7] offset:32
	;; [unrolled: 1-line block ×3, first 2 shown]
	s_and_saveexec_b64 s[6:7], s[0:1]
	s_cbranch_execz .LBB6_2631
; %bb.2624:
	v_mov_b32_e32 v10, 0
	global_load_dwordx2 v[14:15], v10, s[2:3] offset:32 sc0 sc1
	global_load_dwordx2 v[2:3], v10, s[2:3] offset:40
	v_mov_b32_e32 v12, s4
	v_mov_b32_e32 v13, s5
	s_waitcnt vmcnt(0)
	v_and_b32_e32 v2, s4, v2
	v_and_b32_e32 v3, s5, v3
	v_mul_lo_u32 v3, v3, 24
	v_mul_hi_u32 v8, v2, 24
	v_mul_lo_u32 v2, v2, 24
	v_add_u32_e32 v3, v8, v3
	v_lshl_add_u64 v[8:9], v[0:1], 0, v[2:3]
	global_store_dwordx2 v[8:9], v[14:15], off
	buffer_wbl2 sc0 sc1
	s_waitcnt vmcnt(0)
	global_atomic_cmpswap_x2 v[2:3], v10, v[12:15], s[2:3] offset:32 sc0 sc1
	s_waitcnt vmcnt(0)
	v_cmp_ne_u64_e32 vcc, v[2:3], v[14:15]
	s_and_saveexec_b64 s[8:9], vcc
	s_cbranch_execz .LBB6_2627
; %bb.2625:
	s_mov_b64 s[10:11], 0
.LBB6_2626:                             ; =>This Inner Loop Header: Depth=1
	s_sleep 1
	global_store_dwordx2 v[8:9], v[2:3], off
	v_mov_b32_e32 v0, s4
	v_mov_b32_e32 v1, s5
	buffer_wbl2 sc0 sc1
	s_waitcnt vmcnt(0)
	global_atomic_cmpswap_x2 v[0:1], v10, v[0:3], s[2:3] offset:32 sc0 sc1
	s_waitcnt vmcnt(0)
	v_cmp_eq_u64_e32 vcc, v[0:1], v[2:3]
	s_or_b64 s[10:11], vcc, s[10:11]
	v_mov_b64_e32 v[2:3], v[0:1]
	s_andn2_b64 exec, exec, s[10:11]
	s_cbranch_execnz .LBB6_2626
.LBB6_2627:
	s_or_b64 exec, exec, s[8:9]
	v_mov_b32_e32 v3, 0
	global_load_dwordx2 v[0:1], v3, s[2:3] offset:16
	s_mov_b64 s[8:9], exec
	v_mbcnt_lo_u32_b32 v2, s8, 0
	v_mbcnt_hi_u32_b32 v2, s9, v2
	v_cmp_eq_u32_e32 vcc, 0, v2
	s_and_saveexec_b64 s[10:11], vcc
	s_cbranch_execz .LBB6_2629
; %bb.2628:
	s_bcnt1_i32_b64 s8, s[8:9]
	v_mov_b32_e32 v2, s8
	buffer_wbl2 sc0 sc1
	s_waitcnt vmcnt(0)
	global_atomic_add_x2 v[0:1], v[2:3], off offset:8 sc1
.LBB6_2629:
	s_or_b64 exec, exec, s[10:11]
	s_waitcnt vmcnt(0)
	global_load_dwordx2 v[2:3], v[0:1], off offset:16
	s_waitcnt vmcnt(0)
	v_cmp_eq_u64_e32 vcc, 0, v[2:3]
	s_cbranch_vccnz .LBB6_2631
; %bb.2630:
	global_load_dword v0, v[0:1], off offset:24
	v_mov_b32_e32 v1, 0
	s_waitcnt vmcnt(0)
	v_readfirstlane_b32 s8, v0
	s_and_b32 m0, s8, 0xffffff
	buffer_wbl2 sc0 sc1
	global_store_dwordx2 v[2:3], v[0:1], off sc0 sc1
	s_sendmsg sendmsg(MSG_INTERRUPT)
.LBB6_2631:
	s_or_b64 exec, exec, s[6:7]
	v_lshl_add_u64 v[0:1], v[6:7], 0, v[26:27]
	s_branch .LBB6_2635
.LBB6_2632:                             ;   in Loop: Header=BB6_2635 Depth=1
	s_or_b64 exec, exec, s[6:7]
	v_readfirstlane_b32 s6, v2
	s_cmp_eq_u32 s6, 0
	s_cbranch_scc1 .LBB6_2634
; %bb.2633:                             ;   in Loop: Header=BB6_2635 Depth=1
	s_sleep 1
	s_cbranch_execnz .LBB6_2635
	s_branch .LBB6_2637
.LBB6_2634:
	s_branch .LBB6_2637
.LBB6_2635:                             ; =>This Inner Loop Header: Depth=1
	v_mov_b32_e32 v2, 1
	s_and_saveexec_b64 s[6:7], s[0:1]
	s_cbranch_execz .LBB6_2632
; %bb.2636:                             ;   in Loop: Header=BB6_2635 Depth=1
	global_load_dword v2, v[4:5], off offset:20 sc0 sc1
	s_waitcnt vmcnt(0)
	buffer_inv sc0 sc1
	v_and_b32_e32 v2, 1, v2
	s_branch .LBB6_2632
.LBB6_2637:
	global_load_dwordx2 v[0:1], v[0:1], off
	s_and_saveexec_b64 s[6:7], s[0:1]
	s_cbranch_execz .LBB6_2640
; %bb.2638:
	v_mov_b32_e32 v8, 0
	global_load_dwordx2 v[2:3], v8, s[2:3] offset:40
	global_load_dwordx2 v[12:13], v8, s[2:3] offset:24 sc0 sc1
	global_load_dwordx2 v[4:5], v8, s[2:3]
	s_waitcnt vmcnt(2)
	v_readfirstlane_b32 s8, v2
	v_readfirstlane_b32 s9, v3
	s_add_u32 s10, s8, 1
	s_addc_u32 s11, s9, 0
	s_add_u32 s0, s10, s4
	s_addc_u32 s1, s11, s5
	s_cmp_eq_u64 s[0:1], 0
	s_cselect_b32 s1, s11, s1
	s_cselect_b32 s0, s10, s0
	s_and_b64 s[4:5], s[0:1], s[8:9]
	s_mul_i32 s5, s5, 24
	s_mul_hi_u32 s8, s4, 24
	s_mul_i32 s4, s4, 24
	s_add_i32 s5, s8, s5
	s_waitcnt vmcnt(0)
	v_lshl_add_u64 v[6:7], v[4:5], 0, s[4:5]
	v_mov_b32_e32 v10, s0
	global_store_dwordx2 v[6:7], v[12:13], off
	v_mov_b32_e32 v11, s1
	buffer_wbl2 sc0 sc1
	s_waitcnt vmcnt(0)
	global_atomic_cmpswap_x2 v[4:5], v8, v[10:13], s[2:3] offset:24 sc0 sc1
	s_mov_b64 s[4:5], 0
	s_waitcnt vmcnt(0)
	v_cmp_ne_u64_e32 vcc, v[4:5], v[12:13]
	s_and_b64 exec, exec, vcc
	s_cbranch_execz .LBB6_2640
.LBB6_2639:                             ; =>This Inner Loop Header: Depth=1
	s_sleep 1
	global_store_dwordx2 v[6:7], v[4:5], off
	v_mov_b32_e32 v2, s0
	v_mov_b32_e32 v3, s1
	buffer_wbl2 sc0 sc1
	s_waitcnt vmcnt(0)
	global_atomic_cmpswap_x2 v[2:3], v8, v[2:5], s[2:3] offset:24 sc0 sc1
	s_waitcnt vmcnt(0)
	v_cmp_eq_u64_e32 vcc, v[2:3], v[4:5]
	s_or_b64 s[4:5], vcc, s[4:5]
	v_mov_b64_e32 v[4:5], v[2:3]
	s_andn2_b64 exec, exec, s[4:5]
	s_cbranch_execnz .LBB6_2639
.LBB6_2640:
	s_or_b64 exec, exec, s[6:7]
	s_getpc_b64 s[4:5]
	s_add_u32 s4, s4, .str.28@rel32@lo+4
	s_addc_u32 s5, s5, .str.28@rel32@hi+12
	s_cmp_lg_u64 s[4:5], 0
	s_cbranch_scc0 .LBB6_2726
; %bb.2641:
	s_waitcnt vmcnt(0)
	v_and_b32_e32 v6, -3, v0
	v_mov_b32_e32 v7, v1
	s_mov_b64 s[6:7], 35
	v_mov_b32_e32 v29, 0
	v_mov_b32_e32 v4, 2
	;; [unrolled: 1-line block ×3, first 2 shown]
	s_branch .LBB6_2643
.LBB6_2642:                             ;   in Loop: Header=BB6_2643 Depth=1
	s_or_b64 exec, exec, s[12:13]
	s_sub_u32 s6, s6, s8
	s_subb_u32 s7, s7, s9
	s_add_u32 s4, s4, s8
	s_addc_u32 s5, s5, s9
	s_cmp_lg_u64 s[6:7], 0
	s_cbranch_scc0 .LBB6_2725
.LBB6_2643:                             ; =>This Loop Header: Depth=1
                                        ;     Child Loop BB6_2646 Depth 2
                                        ;     Child Loop BB6_2654 Depth 2
	;; [unrolled: 1-line block ×11, first 2 shown]
	v_cmp_lt_u64_e64 s[0:1], s[6:7], 56
	s_and_b64 s[0:1], s[0:1], exec
	s_cselect_b32 s9, s7, 0
	s_cselect_b32 s8, s6, 56
	v_cmp_gt_u64_e64 s[10:11], s[6:7], 7
	s_add_u32 s0, s4, 8
	s_addc_u32 s1, s5, 0
	s_and_b64 vcc, exec, s[10:11]
	s_cbranch_vccnz .LBB6_2647
; %bb.2644:                             ;   in Loop: Header=BB6_2643 Depth=1
	s_cmp_eq_u64 s[6:7], 0
	s_cbranch_scc1 .LBB6_2648
; %bb.2645:                             ;   in Loop: Header=BB6_2643 Depth=1
	s_lshl_b64 s[0:1], s[8:9], 3
	s_mov_b64 s[10:11], 0
	s_waitcnt vmcnt(0)
	v_mov_b64_e32 v[8:9], 0
	s_mov_b64 s[12:13], s[4:5]
.LBB6_2646:                             ;   Parent Loop BB6_2643 Depth=1
                                        ; =>  This Inner Loop Header: Depth=2
	global_load_ubyte v2, v29, s[12:13]
	s_waitcnt vmcnt(0)
	v_and_b32_e32 v28, 0xffff, v2
	v_lshlrev_b64 v[2:3], s10, v[28:29]
	s_add_u32 s10, s10, 8
	s_addc_u32 s11, s11, 0
	s_add_u32 s12, s12, 1
	s_addc_u32 s13, s13, 0
	v_or_b32_e32 v8, v2, v8
	s_cmp_lg_u32 s0, s10
	v_or_b32_e32 v9, v3, v9
	s_cbranch_scc1 .LBB6_2646
	s_branch .LBB6_2649
.LBB6_2647:                             ;   in Loop: Header=BB6_2643 Depth=1
	s_mov_b32 s14, 0
	s_branch .LBB6_2650
.LBB6_2648:                             ;   in Loop: Header=BB6_2643 Depth=1
	s_waitcnt vmcnt(0)
	v_mov_b64_e32 v[8:9], 0
.LBB6_2649:                             ;   in Loop: Header=BB6_2643 Depth=1
	s_mov_b64 s[0:1], s[4:5]
	s_mov_b32 s14, 0
	s_cbranch_execnz .LBB6_2651
.LBB6_2650:                             ;   in Loop: Header=BB6_2643 Depth=1
	global_load_dwordx2 v[8:9], v29, s[4:5]
	s_add_i32 s14, s8, -8
.LBB6_2651:                             ;   in Loop: Header=BB6_2643 Depth=1
	s_add_u32 s10, s0, 8
	s_addc_u32 s11, s1, 0
	s_cmp_gt_u32 s14, 7
	s_cbranch_scc1 .LBB6_2655
; %bb.2652:                             ;   in Loop: Header=BB6_2643 Depth=1
	s_cmp_eq_u32 s14, 0
	s_cbranch_scc1 .LBB6_2656
; %bb.2653:                             ;   in Loop: Header=BB6_2643 Depth=1
	s_mov_b64 s[10:11], 0
	v_mov_b64_e32 v[10:11], 0
	s_mov_b64 s[12:13], 0
.LBB6_2654:                             ;   Parent Loop BB6_2643 Depth=1
                                        ; =>  This Inner Loop Header: Depth=2
	s_add_u32 s16, s0, s12
	s_addc_u32 s17, s1, s13
	global_load_ubyte v2, v29, s[16:17]
	s_add_u32 s12, s12, 1
	s_addc_u32 s13, s13, 0
	s_waitcnt vmcnt(0)
	v_and_b32_e32 v28, 0xffff, v2
	v_lshlrev_b64 v[2:3], s10, v[28:29]
	s_add_u32 s10, s10, 8
	s_addc_u32 s11, s11, 0
	v_or_b32_e32 v10, v2, v10
	s_cmp_lg_u32 s14, s12
	v_or_b32_e32 v11, v3, v11
	s_cbranch_scc1 .LBB6_2654
	s_branch .LBB6_2657
.LBB6_2655:                             ;   in Loop: Header=BB6_2643 Depth=1
                                        ; implicit-def: $vgpr10_vgpr11
	s_mov_b32 s15, 0
	s_branch .LBB6_2658
.LBB6_2656:                             ;   in Loop: Header=BB6_2643 Depth=1
	v_mov_b64_e32 v[10:11], 0
.LBB6_2657:                             ;   in Loop: Header=BB6_2643 Depth=1
	s_mov_b64 s[10:11], s[0:1]
	s_mov_b32 s15, 0
	s_cbranch_execnz .LBB6_2659
.LBB6_2658:                             ;   in Loop: Header=BB6_2643 Depth=1
	global_load_dwordx2 v[10:11], v29, s[0:1]
	s_add_i32 s15, s14, -8
.LBB6_2659:                             ;   in Loop: Header=BB6_2643 Depth=1
	s_add_u32 s0, s10, 8
	s_addc_u32 s1, s11, 0
	s_cmp_gt_u32 s15, 7
	s_cbranch_scc1 .LBB6_2663
; %bb.2660:                             ;   in Loop: Header=BB6_2643 Depth=1
	s_cmp_eq_u32 s15, 0
	s_cbranch_scc1 .LBB6_2664
; %bb.2661:                             ;   in Loop: Header=BB6_2643 Depth=1
	s_mov_b64 s[0:1], 0
	v_mov_b64_e32 v[12:13], 0
	s_mov_b64 s[12:13], 0
.LBB6_2662:                             ;   Parent Loop BB6_2643 Depth=1
                                        ; =>  This Inner Loop Header: Depth=2
	s_add_u32 s16, s10, s12
	s_addc_u32 s17, s11, s13
	global_load_ubyte v2, v29, s[16:17]
	s_add_u32 s12, s12, 1
	s_addc_u32 s13, s13, 0
	s_waitcnt vmcnt(0)
	v_and_b32_e32 v28, 0xffff, v2
	v_lshlrev_b64 v[2:3], s0, v[28:29]
	s_add_u32 s0, s0, 8
	s_addc_u32 s1, s1, 0
	v_or_b32_e32 v12, v2, v12
	s_cmp_lg_u32 s15, s12
	v_or_b32_e32 v13, v3, v13
	s_cbranch_scc1 .LBB6_2662
	s_branch .LBB6_2665
.LBB6_2663:                             ;   in Loop: Header=BB6_2643 Depth=1
	s_mov_b32 s14, 0
	s_branch .LBB6_2666
.LBB6_2664:                             ;   in Loop: Header=BB6_2643 Depth=1
	v_mov_b64_e32 v[12:13], 0
.LBB6_2665:                             ;   in Loop: Header=BB6_2643 Depth=1
	s_mov_b64 s[0:1], s[10:11]
	s_mov_b32 s14, 0
	s_cbranch_execnz .LBB6_2667
.LBB6_2666:                             ;   in Loop: Header=BB6_2643 Depth=1
	global_load_dwordx2 v[12:13], v29, s[10:11]
	s_add_i32 s14, s15, -8
.LBB6_2667:                             ;   in Loop: Header=BB6_2643 Depth=1
	s_add_u32 s10, s0, 8
	s_addc_u32 s11, s1, 0
	s_cmp_gt_u32 s14, 7
	s_cbranch_scc1 .LBB6_2671
; %bb.2668:                             ;   in Loop: Header=BB6_2643 Depth=1
	s_cmp_eq_u32 s14, 0
	s_cbranch_scc1 .LBB6_2672
; %bb.2669:                             ;   in Loop: Header=BB6_2643 Depth=1
	s_mov_b64 s[10:11], 0
	v_mov_b64_e32 v[14:15], 0
	s_mov_b64 s[12:13], 0
.LBB6_2670:                             ;   Parent Loop BB6_2643 Depth=1
                                        ; =>  This Inner Loop Header: Depth=2
	s_add_u32 s16, s0, s12
	s_addc_u32 s17, s1, s13
	global_load_ubyte v2, v29, s[16:17]
	s_add_u32 s12, s12, 1
	s_addc_u32 s13, s13, 0
	s_waitcnt vmcnt(0)
	v_and_b32_e32 v28, 0xffff, v2
	v_lshlrev_b64 v[2:3], s10, v[28:29]
	s_add_u32 s10, s10, 8
	s_addc_u32 s11, s11, 0
	v_or_b32_e32 v14, v2, v14
	s_cmp_lg_u32 s14, s12
	v_or_b32_e32 v15, v3, v15
	s_cbranch_scc1 .LBB6_2670
	s_branch .LBB6_2673
.LBB6_2671:                             ;   in Loop: Header=BB6_2643 Depth=1
                                        ; implicit-def: $vgpr14_vgpr15
	s_mov_b32 s15, 0
	s_branch .LBB6_2674
.LBB6_2672:                             ;   in Loop: Header=BB6_2643 Depth=1
	v_mov_b64_e32 v[14:15], 0
.LBB6_2673:                             ;   in Loop: Header=BB6_2643 Depth=1
	s_mov_b64 s[10:11], s[0:1]
	s_mov_b32 s15, 0
	s_cbranch_execnz .LBB6_2675
.LBB6_2674:                             ;   in Loop: Header=BB6_2643 Depth=1
	global_load_dwordx2 v[14:15], v29, s[0:1]
	s_add_i32 s15, s14, -8
.LBB6_2675:                             ;   in Loop: Header=BB6_2643 Depth=1
	s_add_u32 s0, s10, 8
	s_addc_u32 s1, s11, 0
	s_cmp_gt_u32 s15, 7
	s_cbranch_scc1 .LBB6_2679
; %bb.2676:                             ;   in Loop: Header=BB6_2643 Depth=1
	s_cmp_eq_u32 s15, 0
	s_cbranch_scc1 .LBB6_2680
; %bb.2677:                             ;   in Loop: Header=BB6_2643 Depth=1
	s_mov_b64 s[0:1], 0
	v_mov_b64_e32 v[16:17], 0
	s_mov_b64 s[12:13], 0
.LBB6_2678:                             ;   Parent Loop BB6_2643 Depth=1
                                        ; =>  This Inner Loop Header: Depth=2
	s_add_u32 s16, s10, s12
	s_addc_u32 s17, s11, s13
	global_load_ubyte v2, v29, s[16:17]
	s_add_u32 s12, s12, 1
	s_addc_u32 s13, s13, 0
	s_waitcnt vmcnt(0)
	v_and_b32_e32 v28, 0xffff, v2
	v_lshlrev_b64 v[2:3], s0, v[28:29]
	s_add_u32 s0, s0, 8
	s_addc_u32 s1, s1, 0
	v_or_b32_e32 v16, v2, v16
	s_cmp_lg_u32 s15, s12
	v_or_b32_e32 v17, v3, v17
	s_cbranch_scc1 .LBB6_2678
	s_branch .LBB6_2681
.LBB6_2679:                             ;   in Loop: Header=BB6_2643 Depth=1
	s_mov_b32 s14, 0
	s_branch .LBB6_2682
.LBB6_2680:                             ;   in Loop: Header=BB6_2643 Depth=1
	v_mov_b64_e32 v[16:17], 0
.LBB6_2681:                             ;   in Loop: Header=BB6_2643 Depth=1
	s_mov_b64 s[0:1], s[10:11]
	s_mov_b32 s14, 0
	s_cbranch_execnz .LBB6_2683
.LBB6_2682:                             ;   in Loop: Header=BB6_2643 Depth=1
	global_load_dwordx2 v[16:17], v29, s[10:11]
	s_add_i32 s14, s15, -8
.LBB6_2683:                             ;   in Loop: Header=BB6_2643 Depth=1
	s_add_u32 s10, s0, 8
	s_addc_u32 s11, s1, 0
	s_cmp_gt_u32 s14, 7
	s_cbranch_scc1 .LBB6_2687
; %bb.2684:                             ;   in Loop: Header=BB6_2643 Depth=1
	s_cmp_eq_u32 s14, 0
	s_cbranch_scc1 .LBB6_2688
; %bb.2685:                             ;   in Loop: Header=BB6_2643 Depth=1
	s_mov_b64 s[10:11], 0
	v_mov_b64_e32 v[18:19], 0
	s_mov_b64 s[12:13], 0
.LBB6_2686:                             ;   Parent Loop BB6_2643 Depth=1
                                        ; =>  This Inner Loop Header: Depth=2
	s_add_u32 s16, s0, s12
	s_addc_u32 s17, s1, s13
	global_load_ubyte v2, v29, s[16:17]
	s_add_u32 s12, s12, 1
	s_addc_u32 s13, s13, 0
	s_waitcnt vmcnt(0)
	v_and_b32_e32 v28, 0xffff, v2
	v_lshlrev_b64 v[2:3], s10, v[28:29]
	s_add_u32 s10, s10, 8
	s_addc_u32 s11, s11, 0
	v_or_b32_e32 v18, v2, v18
	s_cmp_lg_u32 s14, s12
	v_or_b32_e32 v19, v3, v19
	s_cbranch_scc1 .LBB6_2686
	s_branch .LBB6_2689
.LBB6_2687:                             ;   in Loop: Header=BB6_2643 Depth=1
                                        ; implicit-def: $vgpr18_vgpr19
	s_mov_b32 s15, 0
	s_branch .LBB6_2690
.LBB6_2688:                             ;   in Loop: Header=BB6_2643 Depth=1
	v_mov_b64_e32 v[18:19], 0
.LBB6_2689:                             ;   in Loop: Header=BB6_2643 Depth=1
	s_mov_b64 s[10:11], s[0:1]
	s_mov_b32 s15, 0
	s_cbranch_execnz .LBB6_2691
.LBB6_2690:                             ;   in Loop: Header=BB6_2643 Depth=1
	global_load_dwordx2 v[18:19], v29, s[0:1]
	s_add_i32 s15, s14, -8
.LBB6_2691:                             ;   in Loop: Header=BB6_2643 Depth=1
	s_cmp_gt_u32 s15, 7
	s_cbranch_scc1 .LBB6_2695
; %bb.2692:                             ;   in Loop: Header=BB6_2643 Depth=1
	s_cmp_eq_u32 s15, 0
	s_cbranch_scc1 .LBB6_2696
; %bb.2693:                             ;   in Loop: Header=BB6_2643 Depth=1
	s_mov_b64 s[0:1], 0
	v_mov_b64_e32 v[20:21], 0
	s_mov_b64 s[12:13], s[10:11]
.LBB6_2694:                             ;   Parent Loop BB6_2643 Depth=1
                                        ; =>  This Inner Loop Header: Depth=2
	global_load_ubyte v2, v29, s[12:13]
	s_add_i32 s15, s15, -1
	s_waitcnt vmcnt(0)
	v_and_b32_e32 v28, 0xffff, v2
	v_lshlrev_b64 v[2:3], s0, v[28:29]
	s_add_u32 s0, s0, 8
	s_addc_u32 s1, s1, 0
	s_add_u32 s12, s12, 1
	s_addc_u32 s13, s13, 0
	v_or_b32_e32 v20, v2, v20
	s_cmp_lg_u32 s15, 0
	v_or_b32_e32 v21, v3, v21
	s_cbranch_scc1 .LBB6_2694
	s_branch .LBB6_2697
.LBB6_2695:                             ;   in Loop: Header=BB6_2643 Depth=1
	s_branch .LBB6_2698
.LBB6_2696:                             ;   in Loop: Header=BB6_2643 Depth=1
	v_mov_b64_e32 v[20:21], 0
.LBB6_2697:                             ;   in Loop: Header=BB6_2643 Depth=1
	s_cbranch_execnz .LBB6_2699
.LBB6_2698:                             ;   in Loop: Header=BB6_2643 Depth=1
	global_load_dwordx2 v[20:21], v29, s[10:11]
.LBB6_2699:                             ;   in Loop: Header=BB6_2643 Depth=1
	v_readfirstlane_b32 s0, v32
	v_mov_b64_e32 v[2:3], 0
	s_nop 0
	v_cmp_eq_u32_e64 s[0:1], s0, v32
	s_and_saveexec_b64 s[10:11], s[0:1]
	s_cbranch_execz .LBB6_2705
; %bb.2700:                             ;   in Loop: Header=BB6_2643 Depth=1
	global_load_dwordx2 v[24:25], v29, s[2:3] offset:24 sc0 sc1
	s_waitcnt vmcnt(0)
	buffer_inv sc0 sc1
	global_load_dwordx2 v[2:3], v29, s[2:3] offset:40
	global_load_dwordx2 v[22:23], v29, s[2:3]
	s_waitcnt vmcnt(1)
	v_and_b32_e32 v2, v2, v24
	v_and_b32_e32 v3, v3, v25
	v_mul_lo_u32 v3, v3, 24
	v_mul_hi_u32 v27, v2, 24
	v_add_u32_e32 v3, v27, v3
	v_mul_lo_u32 v2, v2, 24
	s_waitcnt vmcnt(0)
	v_lshl_add_u64 v[2:3], v[22:23], 0, v[2:3]
	global_load_dwordx2 v[22:23], v[2:3], off sc0 sc1
	s_waitcnt vmcnt(0)
	global_atomic_cmpswap_x2 v[2:3], v29, v[22:25], s[2:3] offset:24 sc0 sc1
	s_waitcnt vmcnt(0)
	buffer_inv sc0 sc1
	v_cmp_ne_u64_e32 vcc, v[2:3], v[24:25]
	s_and_saveexec_b64 s[12:13], vcc
	s_cbranch_execz .LBB6_2704
; %bb.2701:                             ;   in Loop: Header=BB6_2643 Depth=1
	s_mov_b64 s[14:15], 0
.LBB6_2702:                             ;   Parent Loop BB6_2643 Depth=1
                                        ; =>  This Inner Loop Header: Depth=2
	s_sleep 1
	global_load_dwordx2 v[22:23], v29, s[2:3] offset:40
	global_load_dwordx2 v[30:31], v29, s[2:3]
	v_mov_b64_e32 v[24:25], v[2:3]
	s_waitcnt vmcnt(1)
	v_and_b32_e32 v2, v22, v24
	s_waitcnt vmcnt(0)
	v_mad_u64_u32 v[2:3], s[16:17], v2, 24, v[30:31]
	v_and_b32_e32 v23, v23, v25
	v_mov_b32_e32 v22, v3
	v_mad_u64_u32 v[22:23], s[16:17], v23, 24, v[22:23]
	v_mov_b32_e32 v3, v22
	global_load_dwordx2 v[22:23], v[2:3], off sc0 sc1
	s_waitcnt vmcnt(0)
	global_atomic_cmpswap_x2 v[2:3], v29, v[22:25], s[2:3] offset:24 sc0 sc1
	s_waitcnt vmcnt(0)
	buffer_inv sc0 sc1
	v_cmp_eq_u64_e32 vcc, v[2:3], v[24:25]
	s_or_b64 s[14:15], vcc, s[14:15]
	s_andn2_b64 exec, exec, s[14:15]
	s_cbranch_execnz .LBB6_2702
; %bb.2703:                             ;   in Loop: Header=BB6_2643 Depth=1
	s_or_b64 exec, exec, s[14:15]
.LBB6_2704:                             ;   in Loop: Header=BB6_2643 Depth=1
	s_or_b64 exec, exec, s[12:13]
.LBB6_2705:                             ;   in Loop: Header=BB6_2643 Depth=1
	s_or_b64 exec, exec, s[10:11]
	global_load_dwordx2 v[30:31], v29, s[2:3] offset:40
	global_load_dwordx4 v[22:25], v29, s[2:3]
	v_readfirstlane_b32 s11, v3
	v_readfirstlane_b32 s10, v2
	s_mov_b64 s[12:13], exec
	s_waitcnt vmcnt(1)
	v_readfirstlane_b32 s14, v30
	v_readfirstlane_b32 s15, v31
	s_and_b64 s[14:15], s[14:15], s[10:11]
	s_mul_i32 s16, s15, 24
	s_mul_hi_u32 s17, s14, 24
	s_add_i32 s17, s17, s16
	s_mul_i32 s16, s14, 24
	s_waitcnt vmcnt(0)
	v_lshl_add_u64 v[30:31], v[22:23], 0, s[16:17]
	s_and_saveexec_b64 s[16:17], s[0:1]
	s_cbranch_execz .LBB6_2707
; %bb.2706:                             ;   in Loop: Header=BB6_2643 Depth=1
	v_mov_b64_e32 v[2:3], s[12:13]
	global_store_dwordx4 v[30:31], v[2:5], off offset:8
.LBB6_2707:                             ;   in Loop: Header=BB6_2643 Depth=1
	s_or_b64 exec, exec, s[16:17]
	s_lshl_b64 s[12:13], s[14:15], 12
	v_lshl_add_u64 v[2:3], v[24:25], 0, s[12:13]
	v_cmp_gt_u64_e64 s[12:13], s[6:7], 56
	s_and_b64 s[12:13], s[12:13], exec
	s_cselect_b32 s12, 0, 2
	s_lshl_b32 s13, s8, 2
	s_add_i32 s13, s13, 28
	v_and_b32_e32 v6, 0xffffff1f, v6
	s_and_b32 s13, s13, 0x1e0
	v_or_b32_e32 v6, s12, v6
	v_or_b32_e32 v6, s13, v6
	v_readfirstlane_b32 s12, v2
	v_readfirstlane_b32 s13, v3
	s_nop 4
	global_store_dwordx4 v26, v[6:9], s[12:13]
	global_store_dwordx4 v26, v[10:13], s[12:13] offset:16
	global_store_dwordx4 v26, v[14:17], s[12:13] offset:32
	;; [unrolled: 1-line block ×3, first 2 shown]
	s_and_saveexec_b64 s[12:13], s[0:1]
	s_cbranch_execz .LBB6_2715
; %bb.2708:                             ;   in Loop: Header=BB6_2643 Depth=1
	global_load_dwordx2 v[14:15], v29, s[2:3] offset:32 sc0 sc1
	global_load_dwordx2 v[6:7], v29, s[2:3] offset:40
	v_mov_b32_e32 v12, s10
	v_mov_b32_e32 v13, s11
	s_waitcnt vmcnt(0)
	v_readfirstlane_b32 s14, v6
	v_readfirstlane_b32 s15, v7
	s_and_b64 s[14:15], s[14:15], s[10:11]
	s_mul_i32 s15, s15, 24
	s_mul_hi_u32 s16, s14, 24
	s_mul_i32 s14, s14, 24
	s_add_i32 s15, s16, s15
	v_lshl_add_u64 v[10:11], v[22:23], 0, s[14:15]
	global_store_dwordx2 v[10:11], v[14:15], off
	buffer_wbl2 sc0 sc1
	s_waitcnt vmcnt(0)
	global_atomic_cmpswap_x2 v[8:9], v29, v[12:15], s[2:3] offset:32 sc0 sc1
	s_waitcnt vmcnt(0)
	v_cmp_ne_u64_e32 vcc, v[8:9], v[14:15]
	s_and_saveexec_b64 s[14:15], vcc
	s_cbranch_execz .LBB6_2711
; %bb.2709:                             ;   in Loop: Header=BB6_2643 Depth=1
	s_mov_b64 s[16:17], 0
.LBB6_2710:                             ;   Parent Loop BB6_2643 Depth=1
                                        ; =>  This Inner Loop Header: Depth=2
	s_sleep 1
	global_store_dwordx2 v[10:11], v[8:9], off
	v_mov_b32_e32 v6, s10
	v_mov_b32_e32 v7, s11
	buffer_wbl2 sc0 sc1
	s_waitcnt vmcnt(0)
	global_atomic_cmpswap_x2 v[6:7], v29, v[6:9], s[2:3] offset:32 sc0 sc1
	s_waitcnt vmcnt(0)
	v_cmp_eq_u64_e32 vcc, v[6:7], v[8:9]
	s_or_b64 s[16:17], vcc, s[16:17]
	v_mov_b64_e32 v[8:9], v[6:7]
	s_andn2_b64 exec, exec, s[16:17]
	s_cbranch_execnz .LBB6_2710
.LBB6_2711:                             ;   in Loop: Header=BB6_2643 Depth=1
	s_or_b64 exec, exec, s[14:15]
	global_load_dwordx2 v[6:7], v29, s[2:3] offset:16
	s_mov_b64 s[16:17], exec
	v_mbcnt_lo_u32_b32 v8, s16, 0
	v_mbcnt_hi_u32_b32 v8, s17, v8
	v_cmp_eq_u32_e32 vcc, 0, v8
	s_and_saveexec_b64 s[14:15], vcc
	s_cbranch_execz .LBB6_2713
; %bb.2712:                             ;   in Loop: Header=BB6_2643 Depth=1
	s_bcnt1_i32_b64 s16, s[16:17]
	v_mov_b32_e32 v28, s16
	buffer_wbl2 sc0 sc1
	s_waitcnt vmcnt(0)
	global_atomic_add_x2 v[6:7], v[28:29], off offset:8 sc1
.LBB6_2713:                             ;   in Loop: Header=BB6_2643 Depth=1
	s_or_b64 exec, exec, s[14:15]
	s_waitcnt vmcnt(0)
	global_load_dwordx2 v[8:9], v[6:7], off offset:16
	s_waitcnt vmcnt(0)
	v_cmp_eq_u64_e32 vcc, 0, v[8:9]
	s_cbranch_vccnz .LBB6_2715
; %bb.2714:                             ;   in Loop: Header=BB6_2643 Depth=1
	global_load_dword v28, v[6:7], off offset:24
	s_waitcnt vmcnt(0)
	v_readfirstlane_b32 s14, v28
	s_and_b32 m0, s14, 0xffffff
	buffer_wbl2 sc0 sc1
	global_store_dwordx2 v[8:9], v[28:29], off sc0 sc1
	s_sendmsg sendmsg(MSG_INTERRUPT)
.LBB6_2715:                             ;   in Loop: Header=BB6_2643 Depth=1
	s_or_b64 exec, exec, s[12:13]
	v_mov_b32_e32 v27, v29
	v_lshl_add_u64 v[2:3], v[2:3], 0, v[26:27]
	s_branch .LBB6_2719
.LBB6_2716:                             ;   in Loop: Header=BB6_2719 Depth=2
	s_or_b64 exec, exec, s[12:13]
	v_readfirstlane_b32 s12, v6
	s_cmp_eq_u32 s12, 0
	s_cbranch_scc1 .LBB6_2718
; %bb.2717:                             ;   in Loop: Header=BB6_2719 Depth=2
	s_sleep 1
	s_cbranch_execnz .LBB6_2719
	s_branch .LBB6_2721
.LBB6_2718:                             ;   in Loop: Header=BB6_2643 Depth=1
	s_branch .LBB6_2721
.LBB6_2719:                             ;   Parent Loop BB6_2643 Depth=1
                                        ; =>  This Inner Loop Header: Depth=2
	v_mov_b32_e32 v6, 1
	s_and_saveexec_b64 s[12:13], s[0:1]
	s_cbranch_execz .LBB6_2716
; %bb.2720:                             ;   in Loop: Header=BB6_2719 Depth=2
	global_load_dword v6, v[30:31], off offset:20 sc0 sc1
	s_waitcnt vmcnt(0)
	buffer_inv sc0 sc1
	v_and_b32_e32 v6, 1, v6
	s_branch .LBB6_2716
.LBB6_2721:                             ;   in Loop: Header=BB6_2643 Depth=1
	global_load_dwordx4 v[6:9], v[2:3], off
	s_and_saveexec_b64 s[12:13], s[0:1]
	s_cbranch_execz .LBB6_2642
; %bb.2722:                             ;   in Loop: Header=BB6_2643 Depth=1
	global_load_dwordx2 v[2:3], v29, s[2:3] offset:40
	global_load_dwordx2 v[12:13], v29, s[2:3] offset:24 sc0 sc1
	global_load_dwordx2 v[8:9], v29, s[2:3]
	s_waitcnt vmcnt(2)
	v_readfirstlane_b32 s14, v2
	v_readfirstlane_b32 s15, v3
	s_add_u32 s16, s14, 1
	s_addc_u32 s17, s15, 0
	s_add_u32 s0, s16, s10
	s_addc_u32 s1, s17, s11
	s_cmp_eq_u64 s[0:1], 0
	s_cselect_b32 s1, s17, s1
	s_cselect_b32 s0, s16, s0
	s_and_b64 s[10:11], s[0:1], s[14:15]
	s_mul_i32 s11, s11, 24
	s_mul_hi_u32 s14, s10, 24
	s_mul_i32 s10, s10, 24
	s_add_i32 s11, s14, s11
	s_waitcnt vmcnt(0)
	v_lshl_add_u64 v[2:3], v[8:9], 0, s[10:11]
	v_mov_b32_e32 v10, s0
	global_store_dwordx2 v[2:3], v[12:13], off
	v_mov_b32_e32 v11, s1
	buffer_wbl2 sc0 sc1
	s_waitcnt vmcnt(0)
	global_atomic_cmpswap_x2 v[10:11], v29, v[10:13], s[2:3] offset:24 sc0 sc1
	s_waitcnt vmcnt(0)
	v_cmp_ne_u64_e32 vcc, v[10:11], v[12:13]
	s_and_b64 exec, exec, vcc
	s_cbranch_execz .LBB6_2642
; %bb.2723:                             ;   in Loop: Header=BB6_2643 Depth=1
	s_mov_b64 s[10:11], 0
.LBB6_2724:                             ;   Parent Loop BB6_2643 Depth=1
                                        ; =>  This Inner Loop Header: Depth=2
	s_sleep 1
	global_store_dwordx2 v[2:3], v[10:11], off
	v_mov_b32_e32 v8, s0
	v_mov_b32_e32 v9, s1
	buffer_wbl2 sc0 sc1
	s_waitcnt vmcnt(0)
	global_atomic_cmpswap_x2 v[8:9], v29, v[8:11], s[2:3] offset:24 sc0 sc1
	s_waitcnt vmcnt(0)
	v_cmp_eq_u64_e32 vcc, v[8:9], v[10:11]
	s_or_b64 s[10:11], vcc, s[10:11]
	v_mov_b64_e32 v[10:11], v[8:9]
	s_andn2_b64 exec, exec, s[10:11]
	s_cbranch_execnz .LBB6_2724
	s_branch .LBB6_2642
.LBB6_2725:
	s_mov_b64 s[0:1], 0
	s_branch .LBB6_2727
.LBB6_2726:
	s_mov_b64 s[0:1], -1
.LBB6_2727:
	s_and_b64 vcc, exec, s[0:1]
	s_cbranch_vccz .LBB6_2754
; %bb.2728:
	v_readfirstlane_b32 s0, v32
	s_waitcnt vmcnt(0)
	v_mov_b64_e32 v[8:9], 0
	v_cmp_eq_u32_e64 s[0:1], s0, v32
	s_and_saveexec_b64 s[4:5], s[0:1]
	s_cbranch_execz .LBB6_2734
; %bb.2729:
	v_mov_b32_e32 v2, 0
	global_load_dwordx2 v[6:7], v2, s[2:3] offset:24 sc0 sc1
	s_waitcnt vmcnt(0)
	buffer_inv sc0 sc1
	global_load_dwordx2 v[4:5], v2, s[2:3] offset:40
	global_load_dwordx2 v[8:9], v2, s[2:3]
	s_waitcnt vmcnt(1)
	v_and_b32_e32 v3, v4, v6
	v_and_b32_e32 v4, v5, v7
	v_mul_lo_u32 v4, v4, 24
	v_mul_hi_u32 v5, v3, 24
	v_add_u32_e32 v5, v5, v4
	v_mul_lo_u32 v4, v3, 24
	s_waitcnt vmcnt(0)
	v_lshl_add_u64 v[4:5], v[8:9], 0, v[4:5]
	global_load_dwordx2 v[4:5], v[4:5], off sc0 sc1
	s_waitcnt vmcnt(0)
	global_atomic_cmpswap_x2 v[8:9], v2, v[4:7], s[2:3] offset:24 sc0 sc1
	s_waitcnt vmcnt(0)
	buffer_inv sc0 sc1
	v_cmp_ne_u64_e32 vcc, v[8:9], v[6:7]
	s_and_saveexec_b64 s[6:7], vcc
	s_cbranch_execz .LBB6_2733
; %bb.2730:
	s_mov_b64 s[8:9], 0
.LBB6_2731:                             ; =>This Inner Loop Header: Depth=1
	s_sleep 1
	global_load_dwordx2 v[4:5], v2, s[2:3] offset:40
	global_load_dwordx2 v[10:11], v2, s[2:3]
	v_mov_b64_e32 v[6:7], v[8:9]
	s_waitcnt vmcnt(1)
	v_and_b32_e32 v4, v4, v6
	v_and_b32_e32 v3, v5, v7
	s_waitcnt vmcnt(0)
	v_mad_u64_u32 v[4:5], s[10:11], v4, 24, v[10:11]
	v_mov_b32_e32 v8, v5
	v_mad_u64_u32 v[8:9], s[10:11], v3, 24, v[8:9]
	v_mov_b32_e32 v5, v8
	global_load_dwordx2 v[4:5], v[4:5], off sc0 sc1
	s_waitcnt vmcnt(0)
	global_atomic_cmpswap_x2 v[8:9], v2, v[4:7], s[2:3] offset:24 sc0 sc1
	s_waitcnt vmcnt(0)
	buffer_inv sc0 sc1
	v_cmp_eq_u64_e32 vcc, v[8:9], v[6:7]
	s_or_b64 s[8:9], vcc, s[8:9]
	s_andn2_b64 exec, exec, s[8:9]
	s_cbranch_execnz .LBB6_2731
; %bb.2732:
	s_or_b64 exec, exec, s[8:9]
.LBB6_2733:
	s_or_b64 exec, exec, s[6:7]
.LBB6_2734:
	s_or_b64 exec, exec, s[4:5]
	v_mov_b32_e32 v2, 0
	global_load_dwordx2 v[10:11], v2, s[2:3] offset:40
	global_load_dwordx4 v[4:7], v2, s[2:3]
	v_readfirstlane_b32 s5, v9
	v_readfirstlane_b32 s4, v8
	s_mov_b64 s[6:7], exec
	s_waitcnt vmcnt(1)
	v_readfirstlane_b32 s8, v10
	v_readfirstlane_b32 s9, v11
	s_and_b64 s[8:9], s[8:9], s[4:5]
	s_mul_i32 s10, s9, 24
	s_mul_hi_u32 s11, s8, 24
	s_add_i32 s11, s11, s10
	s_mul_i32 s10, s8, 24
	s_waitcnt vmcnt(0)
	v_lshl_add_u64 v[8:9], v[4:5], 0, s[10:11]
	s_and_saveexec_b64 s[10:11], s[0:1]
	s_cbranch_execz .LBB6_2736
; %bb.2735:
	v_mov_b64_e32 v[10:11], s[6:7]
	v_mov_b32_e32 v12, 2
	v_mov_b32_e32 v13, 1
	global_store_dwordx4 v[8:9], v[10:13], off offset:8
.LBB6_2736:
	s_or_b64 exec, exec, s[10:11]
	s_lshl_b64 s[6:7], s[8:9], 12
	v_lshl_add_u64 v[6:7], v[6:7], 0, s[6:7]
	s_movk_i32 s6, 0xff1d
	s_mov_b32 s8, 0
	v_and_or_b32 v0, v0, s6, 34
	v_mov_b32_e32 v3, v2
	v_readfirstlane_b32 s6, v6
	v_readfirstlane_b32 s7, v7
	s_mov_b32 s9, s8
	s_mov_b32 s10, s8
	;; [unrolled: 1-line block ×3, first 2 shown]
	s_nop 1
	global_store_dwordx4 v26, v[0:3], s[6:7]
	s_nop 1
	v_mov_b64_e32 v[0:1], s[8:9]
	v_mov_b64_e32 v[2:3], s[10:11]
	global_store_dwordx4 v26, v[0:3], s[6:7] offset:16
	global_store_dwordx4 v26, v[0:3], s[6:7] offset:32
	;; [unrolled: 1-line block ×3, first 2 shown]
	s_and_saveexec_b64 s[6:7], s[0:1]
	s_cbranch_execz .LBB6_2744
; %bb.2737:
	v_mov_b32_e32 v6, 0
	global_load_dwordx2 v[12:13], v6, s[2:3] offset:32 sc0 sc1
	global_load_dwordx2 v[0:1], v6, s[2:3] offset:40
	v_mov_b32_e32 v10, s4
	v_mov_b32_e32 v11, s5
	s_waitcnt vmcnt(0)
	v_readfirstlane_b32 s8, v0
	v_readfirstlane_b32 s9, v1
	s_and_b64 s[8:9], s[8:9], s[4:5]
	s_mul_i32 s9, s9, 24
	s_mul_hi_u32 s10, s8, 24
	s_mul_i32 s8, s8, 24
	s_add_i32 s9, s10, s9
	v_lshl_add_u64 v[4:5], v[4:5], 0, s[8:9]
	global_store_dwordx2 v[4:5], v[12:13], off
	buffer_wbl2 sc0 sc1
	s_waitcnt vmcnt(0)
	global_atomic_cmpswap_x2 v[2:3], v6, v[10:13], s[2:3] offset:32 sc0 sc1
	s_waitcnt vmcnt(0)
	v_cmp_ne_u64_e32 vcc, v[2:3], v[12:13]
	s_and_saveexec_b64 s[8:9], vcc
	s_cbranch_execz .LBB6_2740
; %bb.2738:
	s_mov_b64 s[10:11], 0
.LBB6_2739:                             ; =>This Inner Loop Header: Depth=1
	s_sleep 1
	global_store_dwordx2 v[4:5], v[2:3], off
	v_mov_b32_e32 v0, s4
	v_mov_b32_e32 v1, s5
	buffer_wbl2 sc0 sc1
	s_waitcnt vmcnt(0)
	global_atomic_cmpswap_x2 v[0:1], v6, v[0:3], s[2:3] offset:32 sc0 sc1
	s_waitcnt vmcnt(0)
	v_cmp_eq_u64_e32 vcc, v[0:1], v[2:3]
	s_or_b64 s[10:11], vcc, s[10:11]
	v_mov_b64_e32 v[2:3], v[0:1]
	s_andn2_b64 exec, exec, s[10:11]
	s_cbranch_execnz .LBB6_2739
.LBB6_2740:
	s_or_b64 exec, exec, s[8:9]
	v_mov_b32_e32 v3, 0
	global_load_dwordx2 v[0:1], v3, s[2:3] offset:16
	s_mov_b64 s[8:9], exec
	v_mbcnt_lo_u32_b32 v2, s8, 0
	v_mbcnt_hi_u32_b32 v2, s9, v2
	v_cmp_eq_u32_e32 vcc, 0, v2
	s_and_saveexec_b64 s[10:11], vcc
	s_cbranch_execz .LBB6_2742
; %bb.2741:
	s_bcnt1_i32_b64 s8, s[8:9]
	v_mov_b32_e32 v2, s8
	buffer_wbl2 sc0 sc1
	s_waitcnt vmcnt(0)
	global_atomic_add_x2 v[0:1], v[2:3], off offset:8 sc1
.LBB6_2742:
	s_or_b64 exec, exec, s[10:11]
	s_waitcnt vmcnt(0)
	global_load_dwordx2 v[2:3], v[0:1], off offset:16
	s_waitcnt vmcnt(0)
	v_cmp_eq_u64_e32 vcc, 0, v[2:3]
	s_cbranch_vccnz .LBB6_2744
; %bb.2743:
	global_load_dword v0, v[0:1], off offset:24
	v_mov_b32_e32 v1, 0
	s_waitcnt vmcnt(0)
	v_readfirstlane_b32 s8, v0
	s_and_b32 m0, s8, 0xffffff
	buffer_wbl2 sc0 sc1
	global_store_dwordx2 v[2:3], v[0:1], off sc0 sc1
	s_sendmsg sendmsg(MSG_INTERRUPT)
.LBB6_2744:
	s_or_b64 exec, exec, s[6:7]
	s_branch .LBB6_2748
.LBB6_2745:                             ;   in Loop: Header=BB6_2748 Depth=1
	s_or_b64 exec, exec, s[6:7]
	v_readfirstlane_b32 s6, v0
	s_cmp_eq_u32 s6, 0
	s_cbranch_scc1 .LBB6_2747
; %bb.2746:                             ;   in Loop: Header=BB6_2748 Depth=1
	s_sleep 1
	s_cbranch_execnz .LBB6_2748
	s_branch .LBB6_2750
.LBB6_2747:
	s_branch .LBB6_2750
.LBB6_2748:                             ; =>This Inner Loop Header: Depth=1
	v_mov_b32_e32 v0, 1
	s_and_saveexec_b64 s[6:7], s[0:1]
	s_cbranch_execz .LBB6_2745
; %bb.2749:                             ;   in Loop: Header=BB6_2748 Depth=1
	global_load_dword v0, v[8:9], off offset:20 sc0 sc1
	s_waitcnt vmcnt(0)
	buffer_inv sc0 sc1
	v_and_b32_e32 v0, 1, v0
	s_branch .LBB6_2745
.LBB6_2750:
	s_and_saveexec_b64 s[6:7], s[0:1]
	s_cbranch_execz .LBB6_2753
; %bb.2751:
	v_mov_b32_e32 v6, 0
	global_load_dwordx2 v[0:1], v6, s[2:3] offset:40
	global_load_dwordx2 v[10:11], v6, s[2:3] offset:24 sc0 sc1
	global_load_dwordx2 v[2:3], v6, s[2:3]
	s_waitcnt vmcnt(2)
	v_readfirstlane_b32 s8, v0
	v_readfirstlane_b32 s9, v1
	s_add_u32 s10, s8, 1
	s_addc_u32 s11, s9, 0
	s_add_u32 s0, s10, s4
	s_addc_u32 s1, s11, s5
	s_cmp_eq_u64 s[0:1], 0
	s_cselect_b32 s1, s11, s1
	s_cselect_b32 s0, s10, s0
	s_and_b64 s[4:5], s[0:1], s[8:9]
	s_mul_i32 s5, s5, 24
	s_mul_hi_u32 s8, s4, 24
	s_mul_i32 s4, s4, 24
	s_add_i32 s5, s8, s5
	s_waitcnt vmcnt(0)
	v_lshl_add_u64 v[4:5], v[2:3], 0, s[4:5]
	v_mov_b32_e32 v8, s0
	global_store_dwordx2 v[4:5], v[10:11], off
	v_mov_b32_e32 v9, s1
	buffer_wbl2 sc0 sc1
	s_waitcnt vmcnt(0)
	global_atomic_cmpswap_x2 v[2:3], v6, v[8:11], s[2:3] offset:24 sc0 sc1
	s_mov_b64 s[4:5], 0
	s_waitcnt vmcnt(0)
	v_cmp_ne_u64_e32 vcc, v[2:3], v[10:11]
	s_and_b64 exec, exec, vcc
	s_cbranch_execz .LBB6_2753
.LBB6_2752:                             ; =>This Inner Loop Header: Depth=1
	s_sleep 1
	global_store_dwordx2 v[4:5], v[2:3], off
	v_mov_b32_e32 v0, s0
	v_mov_b32_e32 v1, s1
	buffer_wbl2 sc0 sc1
	s_waitcnt vmcnt(0)
	global_atomic_cmpswap_x2 v[0:1], v6, v[0:3], s[2:3] offset:24 sc0 sc1
	s_waitcnt vmcnt(0)
	v_cmp_eq_u64_e32 vcc, v[0:1], v[2:3]
	s_or_b64 s[4:5], vcc, s[4:5]
	v_mov_b64_e32 v[2:3], v[0:1]
	s_andn2_b64 exec, exec, s[4:5]
	s_cbranch_execnz .LBB6_2752
.LBB6_2753:
	s_or_b64 exec, exec, s[6:7]
.LBB6_2754:
	s_getpc_b64 s[0:1]
	s_add_u32 s0, s0, .str.29@rel32@lo+4
	s_addc_u32 s1, s1, .str.29@rel32@hi+12
	s_getpc_b64 s[2:3]
	s_add_u32 s2, s2, .str.19@rel32@lo+4
	s_addc_u32 s3, s3, .str.19@rel32@hi+12
	s_getpc_b64 s[4:5]
	s_add_u32 s4, s4, __PRETTY_FUNCTION__._ZN7VecsMemIjLi8192EE5fetchEi@rel32@lo+4
	s_addc_u32 s5, s5, __PRETTY_FUNCTION__._ZN7VecsMemIjLi8192EE5fetchEi@rel32@hi+12
	s_getpc_b64 s[6:7]
	s_add_u32 s6, s6, __assert_fail@rel32@lo+4
	s_addc_u32 s7, s7, __assert_fail@rel32@hi+12
	s_mov_b64 s[8:9], s[64:65]
	s_waitcnt vmcnt(0)
	v_mov_b32_e32 v0, s0
	v_mov_b32_e32 v1, s1
	;; [unrolled: 1-line block ×7, first 2 shown]
	s_swappc_b64 s[30:31], s[6:7]
	s_or_b64 s[24:25], s[24:25], exec
.LBB6_2755:
	s_or_b64 exec, exec, s[22:23]
	s_and_saveexec_b64 s[0:1], s[56:57]
	s_xor_b64 s[22:23], exec, s[0:1]
	s_cbranch_execz .LBB6_2896
; %bb.2756:
	s_load_dwordx2 s[2:3], s[64:65], 0x50
	v_mbcnt_lo_u32_b32 v0, -1, 0
	v_mbcnt_hi_u32_b32 v32, -1, v0
	v_mov_b64_e32 v[4:5], 0
	v_readfirstlane_b32 s0, v32
	s_nop 1
	v_cmp_eq_u32_e64 s[0:1], s0, v32
	s_and_saveexec_b64 s[4:5], s[0:1]
	s_cbranch_execz .LBB6_2762
; %bb.2757:
	v_mov_b32_e32 v0, 0
	s_waitcnt lgkmcnt(0)
	global_load_dwordx2 v[6:7], v0, s[2:3] offset:24 sc0 sc1
	s_waitcnt vmcnt(0)
	buffer_inv sc0 sc1
	global_load_dwordx2 v[2:3], v0, s[2:3] offset:40
	global_load_dwordx2 v[4:5], v0, s[2:3]
	s_waitcnt vmcnt(1)
	v_and_b32_e32 v1, v2, v6
	v_and_b32_e32 v2, v3, v7
	v_mul_lo_u32 v2, v2, 24
	v_mul_hi_u32 v3, v1, 24
	v_add_u32_e32 v3, v3, v2
	v_mul_lo_u32 v2, v1, 24
	s_waitcnt vmcnt(0)
	v_lshl_add_u64 v[2:3], v[4:5], 0, v[2:3]
	global_load_dwordx2 v[4:5], v[2:3], off sc0 sc1
	s_waitcnt vmcnt(0)
	global_atomic_cmpswap_x2 v[4:5], v0, v[4:7], s[2:3] offset:24 sc0 sc1
	s_waitcnt vmcnt(0)
	buffer_inv sc0 sc1
	v_cmp_ne_u64_e32 vcc, v[4:5], v[6:7]
	s_and_saveexec_b64 s[6:7], vcc
	s_cbranch_execz .LBB6_2761
; %bb.2758:
	s_mov_b64 s[8:9], 0
.LBB6_2759:                             ; =>This Inner Loop Header: Depth=1
	s_sleep 1
	global_load_dwordx2 v[2:3], v0, s[2:3] offset:40
	global_load_dwordx2 v[8:9], v0, s[2:3]
	v_mov_b64_e32 v[6:7], v[4:5]
	s_waitcnt vmcnt(1)
	v_and_b32_e32 v2, v2, v6
	v_and_b32_e32 v1, v3, v7
	s_waitcnt vmcnt(0)
	v_mad_u64_u32 v[2:3], s[10:11], v2, 24, v[8:9]
	v_mov_b32_e32 v4, v3
	v_mad_u64_u32 v[4:5], s[10:11], v1, 24, v[4:5]
	v_mov_b32_e32 v3, v4
	global_load_dwordx2 v[4:5], v[2:3], off sc0 sc1
	s_waitcnt vmcnt(0)
	global_atomic_cmpswap_x2 v[4:5], v0, v[4:7], s[2:3] offset:24 sc0 sc1
	s_waitcnt vmcnt(0)
	buffer_inv sc0 sc1
	v_cmp_eq_u64_e32 vcc, v[4:5], v[6:7]
	s_or_b64 s[8:9], vcc, s[8:9]
	s_andn2_b64 exec, exec, s[8:9]
	s_cbranch_execnz .LBB6_2759
; %bb.2760:
	s_or_b64 exec, exec, s[8:9]
.LBB6_2761:
	s_or_b64 exec, exec, s[6:7]
.LBB6_2762:
	s_or_b64 exec, exec, s[4:5]
	v_mov_b32_e32 v27, 0
	s_waitcnt lgkmcnt(0)
	global_load_dwordx2 v[6:7], v27, s[2:3] offset:40
	global_load_dwordx4 v[0:3], v27, s[2:3]
	v_readfirstlane_b32 s5, v5
	v_readfirstlane_b32 s4, v4
	s_mov_b64 s[6:7], exec
	s_waitcnt vmcnt(0)
	v_readfirstlane_b32 s8, v6
	v_readfirstlane_b32 s9, v7
	s_and_b64 s[8:9], s[8:9], s[4:5]
	s_mul_i32 s10, s9, 24
	s_mul_hi_u32 s11, s8, 24
	s_add_i32 s11, s11, s10
	s_mul_i32 s10, s8, 24
	v_lshl_add_u64 v[4:5], v[0:1], 0, s[10:11]
	s_and_saveexec_b64 s[10:11], s[0:1]
	s_cbranch_execz .LBB6_2764
; %bb.2763:
	v_mov_b64_e32 v[6:7], s[6:7]
	v_mov_b32_e32 v8, 2
	v_mov_b32_e32 v9, 1
	global_store_dwordx4 v[4:5], v[6:9], off offset:8
.LBB6_2764:
	s_or_b64 exec, exec, s[10:11]
	s_lshl_b64 s[6:7], s[8:9], 12
	v_lshl_add_u64 v[6:7], v[2:3], 0, s[6:7]
	s_mov_b32 s8, 0
	v_lshlrev_b32_e32 v26, 6, v32
	v_mov_b32_e32 v8, 33
	v_mov_b32_e32 v9, v27
	;; [unrolled: 1-line block ×4, first 2 shown]
	v_readfirstlane_b32 s6, v6
	v_readfirstlane_b32 s7, v7
	s_mov_b32 s9, s8
	s_mov_b32 s10, s8
	;; [unrolled: 1-line block ×3, first 2 shown]
	s_nop 1
	global_store_dwordx4 v26, v[8:11], s[6:7]
	s_nop 1
	v_mov_b64_e32 v[8:9], s[8:9]
	v_mov_b64_e32 v[10:11], s[10:11]
	global_store_dwordx4 v26, v[8:11], s[6:7] offset:16
	global_store_dwordx4 v26, v[8:11], s[6:7] offset:32
	;; [unrolled: 1-line block ×3, first 2 shown]
	s_and_saveexec_b64 s[6:7], s[0:1]
	s_cbranch_execz .LBB6_2772
; %bb.2765:
	v_mov_b32_e32 v10, 0
	global_load_dwordx2 v[14:15], v10, s[2:3] offset:32 sc0 sc1
	global_load_dwordx2 v[2:3], v10, s[2:3] offset:40
	v_mov_b32_e32 v12, s4
	v_mov_b32_e32 v13, s5
	s_waitcnt vmcnt(0)
	v_and_b32_e32 v2, s4, v2
	v_and_b32_e32 v3, s5, v3
	v_mul_lo_u32 v3, v3, 24
	v_mul_hi_u32 v8, v2, 24
	v_mul_lo_u32 v2, v2, 24
	v_add_u32_e32 v3, v8, v3
	v_lshl_add_u64 v[8:9], v[0:1], 0, v[2:3]
	global_store_dwordx2 v[8:9], v[14:15], off
	buffer_wbl2 sc0 sc1
	s_waitcnt vmcnt(0)
	global_atomic_cmpswap_x2 v[2:3], v10, v[12:15], s[2:3] offset:32 sc0 sc1
	s_waitcnt vmcnt(0)
	v_cmp_ne_u64_e32 vcc, v[2:3], v[14:15]
	s_and_saveexec_b64 s[8:9], vcc
	s_cbranch_execz .LBB6_2768
; %bb.2766:
	s_mov_b64 s[10:11], 0
.LBB6_2767:                             ; =>This Inner Loop Header: Depth=1
	s_sleep 1
	global_store_dwordx2 v[8:9], v[2:3], off
	v_mov_b32_e32 v0, s4
	v_mov_b32_e32 v1, s5
	buffer_wbl2 sc0 sc1
	s_waitcnt vmcnt(0)
	global_atomic_cmpswap_x2 v[0:1], v10, v[0:3], s[2:3] offset:32 sc0 sc1
	s_waitcnt vmcnt(0)
	v_cmp_eq_u64_e32 vcc, v[0:1], v[2:3]
	s_or_b64 s[10:11], vcc, s[10:11]
	v_mov_b64_e32 v[2:3], v[0:1]
	s_andn2_b64 exec, exec, s[10:11]
	s_cbranch_execnz .LBB6_2767
.LBB6_2768:
	s_or_b64 exec, exec, s[8:9]
	v_mov_b32_e32 v3, 0
	global_load_dwordx2 v[0:1], v3, s[2:3] offset:16
	s_mov_b64 s[8:9], exec
	v_mbcnt_lo_u32_b32 v2, s8, 0
	v_mbcnt_hi_u32_b32 v2, s9, v2
	v_cmp_eq_u32_e32 vcc, 0, v2
	s_and_saveexec_b64 s[10:11], vcc
	s_cbranch_execz .LBB6_2770
; %bb.2769:
	s_bcnt1_i32_b64 s8, s[8:9]
	v_mov_b32_e32 v2, s8
	buffer_wbl2 sc0 sc1
	s_waitcnt vmcnt(0)
	global_atomic_add_x2 v[0:1], v[2:3], off offset:8 sc1
.LBB6_2770:
	s_or_b64 exec, exec, s[10:11]
	s_waitcnt vmcnt(0)
	global_load_dwordx2 v[2:3], v[0:1], off offset:16
	s_waitcnt vmcnt(0)
	v_cmp_eq_u64_e32 vcc, 0, v[2:3]
	s_cbranch_vccnz .LBB6_2772
; %bb.2771:
	global_load_dword v0, v[0:1], off offset:24
	v_mov_b32_e32 v1, 0
	s_waitcnt vmcnt(0)
	v_readfirstlane_b32 s8, v0
	s_and_b32 m0, s8, 0xffffff
	buffer_wbl2 sc0 sc1
	global_store_dwordx2 v[2:3], v[0:1], off sc0 sc1
	s_sendmsg sendmsg(MSG_INTERRUPT)
.LBB6_2772:
	s_or_b64 exec, exec, s[6:7]
	v_lshl_add_u64 v[0:1], v[6:7], 0, v[26:27]
	s_branch .LBB6_2776
.LBB6_2773:                             ;   in Loop: Header=BB6_2776 Depth=1
	s_or_b64 exec, exec, s[6:7]
	v_readfirstlane_b32 s6, v2
	s_cmp_eq_u32 s6, 0
	s_cbranch_scc1 .LBB6_2775
; %bb.2774:                             ;   in Loop: Header=BB6_2776 Depth=1
	s_sleep 1
	s_cbranch_execnz .LBB6_2776
	s_branch .LBB6_2778
.LBB6_2775:
	s_branch .LBB6_2778
.LBB6_2776:                             ; =>This Inner Loop Header: Depth=1
	v_mov_b32_e32 v2, 1
	s_and_saveexec_b64 s[6:7], s[0:1]
	s_cbranch_execz .LBB6_2773
; %bb.2777:                             ;   in Loop: Header=BB6_2776 Depth=1
	global_load_dword v2, v[4:5], off offset:20 sc0 sc1
	s_waitcnt vmcnt(0)
	buffer_inv sc0 sc1
	v_and_b32_e32 v2, 1, v2
	s_branch .LBB6_2773
.LBB6_2778:
	global_load_dwordx2 v[0:1], v[0:1], off
	s_and_saveexec_b64 s[6:7], s[0:1]
	s_cbranch_execz .LBB6_2781
; %bb.2779:
	v_mov_b32_e32 v8, 0
	global_load_dwordx2 v[2:3], v8, s[2:3] offset:40
	global_load_dwordx2 v[12:13], v8, s[2:3] offset:24 sc0 sc1
	global_load_dwordx2 v[4:5], v8, s[2:3]
	s_waitcnt vmcnt(2)
	v_readfirstlane_b32 s8, v2
	v_readfirstlane_b32 s9, v3
	s_add_u32 s10, s8, 1
	s_addc_u32 s11, s9, 0
	s_add_u32 s0, s10, s4
	s_addc_u32 s1, s11, s5
	s_cmp_eq_u64 s[0:1], 0
	s_cselect_b32 s1, s11, s1
	s_cselect_b32 s0, s10, s0
	s_and_b64 s[4:5], s[0:1], s[8:9]
	s_mul_i32 s5, s5, 24
	s_mul_hi_u32 s8, s4, 24
	s_mul_i32 s4, s4, 24
	s_add_i32 s5, s8, s5
	s_waitcnt vmcnt(0)
	v_lshl_add_u64 v[6:7], v[4:5], 0, s[4:5]
	v_mov_b32_e32 v10, s0
	global_store_dwordx2 v[6:7], v[12:13], off
	v_mov_b32_e32 v11, s1
	buffer_wbl2 sc0 sc1
	s_waitcnt vmcnt(0)
	global_atomic_cmpswap_x2 v[4:5], v8, v[10:13], s[2:3] offset:24 sc0 sc1
	s_mov_b64 s[4:5], 0
	s_waitcnt vmcnt(0)
	v_cmp_ne_u64_e32 vcc, v[4:5], v[12:13]
	s_and_b64 exec, exec, vcc
	s_cbranch_execz .LBB6_2781
.LBB6_2780:                             ; =>This Inner Loop Header: Depth=1
	s_sleep 1
	global_store_dwordx2 v[6:7], v[4:5], off
	v_mov_b32_e32 v2, s0
	v_mov_b32_e32 v3, s1
	buffer_wbl2 sc0 sc1
	s_waitcnt vmcnt(0)
	global_atomic_cmpswap_x2 v[2:3], v8, v[2:5], s[2:3] offset:24 sc0 sc1
	s_waitcnt vmcnt(0)
	v_cmp_eq_u64_e32 vcc, v[2:3], v[4:5]
	s_or_b64 s[4:5], vcc, s[4:5]
	v_mov_b64_e32 v[4:5], v[2:3]
	s_andn2_b64 exec, exec, s[4:5]
	s_cbranch_execnz .LBB6_2780
.LBB6_2781:
	s_or_b64 exec, exec, s[6:7]
	s_getpc_b64 s[4:5]
	s_add_u32 s4, s4, .str.28@rel32@lo+4
	s_addc_u32 s5, s5, .str.28@rel32@hi+12
	s_cmp_lg_u64 s[4:5], 0
	s_cbranch_scc0 .LBB6_2867
; %bb.2782:
	s_waitcnt vmcnt(0)
	v_and_b32_e32 v6, -3, v0
	v_mov_b32_e32 v7, v1
	s_mov_b64 s[6:7], 35
	v_mov_b32_e32 v29, 0
	v_mov_b32_e32 v4, 2
	;; [unrolled: 1-line block ×3, first 2 shown]
	s_branch .LBB6_2784
.LBB6_2783:                             ;   in Loop: Header=BB6_2784 Depth=1
	s_or_b64 exec, exec, s[12:13]
	s_sub_u32 s6, s6, s8
	s_subb_u32 s7, s7, s9
	s_add_u32 s4, s4, s8
	s_addc_u32 s5, s5, s9
	s_cmp_lg_u64 s[6:7], 0
	s_cbranch_scc0 .LBB6_2866
.LBB6_2784:                             ; =>This Loop Header: Depth=1
                                        ;     Child Loop BB6_2787 Depth 2
                                        ;     Child Loop BB6_2795 Depth 2
	;; [unrolled: 1-line block ×11, first 2 shown]
	v_cmp_lt_u64_e64 s[0:1], s[6:7], 56
	s_and_b64 s[0:1], s[0:1], exec
	s_cselect_b32 s9, s7, 0
	s_cselect_b32 s8, s6, 56
	v_cmp_gt_u64_e64 s[10:11], s[6:7], 7
	s_add_u32 s0, s4, 8
	s_addc_u32 s1, s5, 0
	s_and_b64 vcc, exec, s[10:11]
	s_cbranch_vccnz .LBB6_2788
; %bb.2785:                             ;   in Loop: Header=BB6_2784 Depth=1
	s_cmp_eq_u64 s[6:7], 0
	s_cbranch_scc1 .LBB6_2789
; %bb.2786:                             ;   in Loop: Header=BB6_2784 Depth=1
	s_lshl_b64 s[0:1], s[8:9], 3
	s_mov_b64 s[10:11], 0
	s_waitcnt vmcnt(0)
	v_mov_b64_e32 v[8:9], 0
	s_mov_b64 s[12:13], s[4:5]
.LBB6_2787:                             ;   Parent Loop BB6_2784 Depth=1
                                        ; =>  This Inner Loop Header: Depth=2
	global_load_ubyte v2, v29, s[12:13]
	s_waitcnt vmcnt(0)
	v_and_b32_e32 v28, 0xffff, v2
	v_lshlrev_b64 v[2:3], s10, v[28:29]
	s_add_u32 s10, s10, 8
	s_addc_u32 s11, s11, 0
	s_add_u32 s12, s12, 1
	s_addc_u32 s13, s13, 0
	v_or_b32_e32 v8, v2, v8
	s_cmp_lg_u32 s0, s10
	v_or_b32_e32 v9, v3, v9
	s_cbranch_scc1 .LBB6_2787
	s_branch .LBB6_2790
.LBB6_2788:                             ;   in Loop: Header=BB6_2784 Depth=1
	s_mov_b32 s14, 0
	s_branch .LBB6_2791
.LBB6_2789:                             ;   in Loop: Header=BB6_2784 Depth=1
	s_waitcnt vmcnt(0)
	v_mov_b64_e32 v[8:9], 0
.LBB6_2790:                             ;   in Loop: Header=BB6_2784 Depth=1
	s_mov_b64 s[0:1], s[4:5]
	s_mov_b32 s14, 0
	s_cbranch_execnz .LBB6_2792
.LBB6_2791:                             ;   in Loop: Header=BB6_2784 Depth=1
	global_load_dwordx2 v[8:9], v29, s[4:5]
	s_add_i32 s14, s8, -8
.LBB6_2792:                             ;   in Loop: Header=BB6_2784 Depth=1
	s_add_u32 s10, s0, 8
	s_addc_u32 s11, s1, 0
	s_cmp_gt_u32 s14, 7
	s_cbranch_scc1 .LBB6_2796
; %bb.2793:                             ;   in Loop: Header=BB6_2784 Depth=1
	s_cmp_eq_u32 s14, 0
	s_cbranch_scc1 .LBB6_2797
; %bb.2794:                             ;   in Loop: Header=BB6_2784 Depth=1
	s_mov_b64 s[10:11], 0
	v_mov_b64_e32 v[10:11], 0
	s_mov_b64 s[12:13], 0
.LBB6_2795:                             ;   Parent Loop BB6_2784 Depth=1
                                        ; =>  This Inner Loop Header: Depth=2
	s_add_u32 s16, s0, s12
	s_addc_u32 s17, s1, s13
	global_load_ubyte v2, v29, s[16:17]
	s_add_u32 s12, s12, 1
	s_addc_u32 s13, s13, 0
	s_waitcnt vmcnt(0)
	v_and_b32_e32 v28, 0xffff, v2
	v_lshlrev_b64 v[2:3], s10, v[28:29]
	s_add_u32 s10, s10, 8
	s_addc_u32 s11, s11, 0
	v_or_b32_e32 v10, v2, v10
	s_cmp_lg_u32 s14, s12
	v_or_b32_e32 v11, v3, v11
	s_cbranch_scc1 .LBB6_2795
	s_branch .LBB6_2798
.LBB6_2796:                             ;   in Loop: Header=BB6_2784 Depth=1
                                        ; implicit-def: $vgpr10_vgpr11
	s_mov_b32 s15, 0
	s_branch .LBB6_2799
.LBB6_2797:                             ;   in Loop: Header=BB6_2784 Depth=1
	v_mov_b64_e32 v[10:11], 0
.LBB6_2798:                             ;   in Loop: Header=BB6_2784 Depth=1
	s_mov_b64 s[10:11], s[0:1]
	s_mov_b32 s15, 0
	s_cbranch_execnz .LBB6_2800
.LBB6_2799:                             ;   in Loop: Header=BB6_2784 Depth=1
	global_load_dwordx2 v[10:11], v29, s[0:1]
	s_add_i32 s15, s14, -8
.LBB6_2800:                             ;   in Loop: Header=BB6_2784 Depth=1
	s_add_u32 s0, s10, 8
	s_addc_u32 s1, s11, 0
	s_cmp_gt_u32 s15, 7
	s_cbranch_scc1 .LBB6_2804
; %bb.2801:                             ;   in Loop: Header=BB6_2784 Depth=1
	s_cmp_eq_u32 s15, 0
	s_cbranch_scc1 .LBB6_2805
; %bb.2802:                             ;   in Loop: Header=BB6_2784 Depth=1
	s_mov_b64 s[0:1], 0
	v_mov_b64_e32 v[12:13], 0
	s_mov_b64 s[12:13], 0
.LBB6_2803:                             ;   Parent Loop BB6_2784 Depth=1
                                        ; =>  This Inner Loop Header: Depth=2
	s_add_u32 s16, s10, s12
	s_addc_u32 s17, s11, s13
	global_load_ubyte v2, v29, s[16:17]
	s_add_u32 s12, s12, 1
	s_addc_u32 s13, s13, 0
	s_waitcnt vmcnt(0)
	v_and_b32_e32 v28, 0xffff, v2
	v_lshlrev_b64 v[2:3], s0, v[28:29]
	s_add_u32 s0, s0, 8
	s_addc_u32 s1, s1, 0
	v_or_b32_e32 v12, v2, v12
	s_cmp_lg_u32 s15, s12
	v_or_b32_e32 v13, v3, v13
	s_cbranch_scc1 .LBB6_2803
	s_branch .LBB6_2806
.LBB6_2804:                             ;   in Loop: Header=BB6_2784 Depth=1
	s_mov_b32 s14, 0
	s_branch .LBB6_2807
.LBB6_2805:                             ;   in Loop: Header=BB6_2784 Depth=1
	v_mov_b64_e32 v[12:13], 0
.LBB6_2806:                             ;   in Loop: Header=BB6_2784 Depth=1
	s_mov_b64 s[0:1], s[10:11]
	s_mov_b32 s14, 0
	s_cbranch_execnz .LBB6_2808
.LBB6_2807:                             ;   in Loop: Header=BB6_2784 Depth=1
	global_load_dwordx2 v[12:13], v29, s[10:11]
	s_add_i32 s14, s15, -8
.LBB6_2808:                             ;   in Loop: Header=BB6_2784 Depth=1
	s_add_u32 s10, s0, 8
	s_addc_u32 s11, s1, 0
	s_cmp_gt_u32 s14, 7
	s_cbranch_scc1 .LBB6_2812
; %bb.2809:                             ;   in Loop: Header=BB6_2784 Depth=1
	s_cmp_eq_u32 s14, 0
	s_cbranch_scc1 .LBB6_2813
; %bb.2810:                             ;   in Loop: Header=BB6_2784 Depth=1
	s_mov_b64 s[10:11], 0
	v_mov_b64_e32 v[14:15], 0
	s_mov_b64 s[12:13], 0
.LBB6_2811:                             ;   Parent Loop BB6_2784 Depth=1
                                        ; =>  This Inner Loop Header: Depth=2
	s_add_u32 s16, s0, s12
	s_addc_u32 s17, s1, s13
	global_load_ubyte v2, v29, s[16:17]
	s_add_u32 s12, s12, 1
	s_addc_u32 s13, s13, 0
	s_waitcnt vmcnt(0)
	v_and_b32_e32 v28, 0xffff, v2
	v_lshlrev_b64 v[2:3], s10, v[28:29]
	s_add_u32 s10, s10, 8
	s_addc_u32 s11, s11, 0
	v_or_b32_e32 v14, v2, v14
	s_cmp_lg_u32 s14, s12
	v_or_b32_e32 v15, v3, v15
	s_cbranch_scc1 .LBB6_2811
	s_branch .LBB6_2814
.LBB6_2812:                             ;   in Loop: Header=BB6_2784 Depth=1
                                        ; implicit-def: $vgpr14_vgpr15
	s_mov_b32 s15, 0
	s_branch .LBB6_2815
.LBB6_2813:                             ;   in Loop: Header=BB6_2784 Depth=1
	v_mov_b64_e32 v[14:15], 0
.LBB6_2814:                             ;   in Loop: Header=BB6_2784 Depth=1
	s_mov_b64 s[10:11], s[0:1]
	s_mov_b32 s15, 0
	s_cbranch_execnz .LBB6_2816
.LBB6_2815:                             ;   in Loop: Header=BB6_2784 Depth=1
	global_load_dwordx2 v[14:15], v29, s[0:1]
	s_add_i32 s15, s14, -8
.LBB6_2816:                             ;   in Loop: Header=BB6_2784 Depth=1
	s_add_u32 s0, s10, 8
	s_addc_u32 s1, s11, 0
	s_cmp_gt_u32 s15, 7
	s_cbranch_scc1 .LBB6_2820
; %bb.2817:                             ;   in Loop: Header=BB6_2784 Depth=1
	s_cmp_eq_u32 s15, 0
	s_cbranch_scc1 .LBB6_2821
; %bb.2818:                             ;   in Loop: Header=BB6_2784 Depth=1
	s_mov_b64 s[0:1], 0
	v_mov_b64_e32 v[16:17], 0
	s_mov_b64 s[12:13], 0
.LBB6_2819:                             ;   Parent Loop BB6_2784 Depth=1
                                        ; =>  This Inner Loop Header: Depth=2
	s_add_u32 s16, s10, s12
	s_addc_u32 s17, s11, s13
	global_load_ubyte v2, v29, s[16:17]
	s_add_u32 s12, s12, 1
	s_addc_u32 s13, s13, 0
	s_waitcnt vmcnt(0)
	v_and_b32_e32 v28, 0xffff, v2
	v_lshlrev_b64 v[2:3], s0, v[28:29]
	s_add_u32 s0, s0, 8
	s_addc_u32 s1, s1, 0
	v_or_b32_e32 v16, v2, v16
	s_cmp_lg_u32 s15, s12
	v_or_b32_e32 v17, v3, v17
	s_cbranch_scc1 .LBB6_2819
	s_branch .LBB6_2822
.LBB6_2820:                             ;   in Loop: Header=BB6_2784 Depth=1
	s_mov_b32 s14, 0
	s_branch .LBB6_2823
.LBB6_2821:                             ;   in Loop: Header=BB6_2784 Depth=1
	v_mov_b64_e32 v[16:17], 0
.LBB6_2822:                             ;   in Loop: Header=BB6_2784 Depth=1
	s_mov_b64 s[0:1], s[10:11]
	s_mov_b32 s14, 0
	s_cbranch_execnz .LBB6_2824
.LBB6_2823:                             ;   in Loop: Header=BB6_2784 Depth=1
	global_load_dwordx2 v[16:17], v29, s[10:11]
	s_add_i32 s14, s15, -8
.LBB6_2824:                             ;   in Loop: Header=BB6_2784 Depth=1
	s_add_u32 s10, s0, 8
	s_addc_u32 s11, s1, 0
	s_cmp_gt_u32 s14, 7
	s_cbranch_scc1 .LBB6_2828
; %bb.2825:                             ;   in Loop: Header=BB6_2784 Depth=1
	s_cmp_eq_u32 s14, 0
	s_cbranch_scc1 .LBB6_2829
; %bb.2826:                             ;   in Loop: Header=BB6_2784 Depth=1
	s_mov_b64 s[10:11], 0
	v_mov_b64_e32 v[18:19], 0
	s_mov_b64 s[12:13], 0
.LBB6_2827:                             ;   Parent Loop BB6_2784 Depth=1
                                        ; =>  This Inner Loop Header: Depth=2
	s_add_u32 s16, s0, s12
	s_addc_u32 s17, s1, s13
	global_load_ubyte v2, v29, s[16:17]
	s_add_u32 s12, s12, 1
	s_addc_u32 s13, s13, 0
	s_waitcnt vmcnt(0)
	v_and_b32_e32 v28, 0xffff, v2
	v_lshlrev_b64 v[2:3], s10, v[28:29]
	s_add_u32 s10, s10, 8
	s_addc_u32 s11, s11, 0
	v_or_b32_e32 v18, v2, v18
	s_cmp_lg_u32 s14, s12
	v_or_b32_e32 v19, v3, v19
	s_cbranch_scc1 .LBB6_2827
	s_branch .LBB6_2830
.LBB6_2828:                             ;   in Loop: Header=BB6_2784 Depth=1
                                        ; implicit-def: $vgpr18_vgpr19
	s_mov_b32 s15, 0
	s_branch .LBB6_2831
.LBB6_2829:                             ;   in Loop: Header=BB6_2784 Depth=1
	v_mov_b64_e32 v[18:19], 0
.LBB6_2830:                             ;   in Loop: Header=BB6_2784 Depth=1
	s_mov_b64 s[10:11], s[0:1]
	s_mov_b32 s15, 0
	s_cbranch_execnz .LBB6_2832
.LBB6_2831:                             ;   in Loop: Header=BB6_2784 Depth=1
	global_load_dwordx2 v[18:19], v29, s[0:1]
	s_add_i32 s15, s14, -8
.LBB6_2832:                             ;   in Loop: Header=BB6_2784 Depth=1
	s_cmp_gt_u32 s15, 7
	s_cbranch_scc1 .LBB6_2836
; %bb.2833:                             ;   in Loop: Header=BB6_2784 Depth=1
	s_cmp_eq_u32 s15, 0
	s_cbranch_scc1 .LBB6_2837
; %bb.2834:                             ;   in Loop: Header=BB6_2784 Depth=1
	s_mov_b64 s[0:1], 0
	v_mov_b64_e32 v[20:21], 0
	s_mov_b64 s[12:13], s[10:11]
.LBB6_2835:                             ;   Parent Loop BB6_2784 Depth=1
                                        ; =>  This Inner Loop Header: Depth=2
	global_load_ubyte v2, v29, s[12:13]
	s_add_i32 s15, s15, -1
	s_waitcnt vmcnt(0)
	v_and_b32_e32 v28, 0xffff, v2
	v_lshlrev_b64 v[2:3], s0, v[28:29]
	s_add_u32 s0, s0, 8
	s_addc_u32 s1, s1, 0
	s_add_u32 s12, s12, 1
	s_addc_u32 s13, s13, 0
	v_or_b32_e32 v20, v2, v20
	s_cmp_lg_u32 s15, 0
	v_or_b32_e32 v21, v3, v21
	s_cbranch_scc1 .LBB6_2835
	s_branch .LBB6_2838
.LBB6_2836:                             ;   in Loop: Header=BB6_2784 Depth=1
	s_branch .LBB6_2839
.LBB6_2837:                             ;   in Loop: Header=BB6_2784 Depth=1
	v_mov_b64_e32 v[20:21], 0
.LBB6_2838:                             ;   in Loop: Header=BB6_2784 Depth=1
	s_cbranch_execnz .LBB6_2840
.LBB6_2839:                             ;   in Loop: Header=BB6_2784 Depth=1
	global_load_dwordx2 v[20:21], v29, s[10:11]
.LBB6_2840:                             ;   in Loop: Header=BB6_2784 Depth=1
	v_readfirstlane_b32 s0, v32
	v_mov_b64_e32 v[2:3], 0
	s_nop 0
	v_cmp_eq_u32_e64 s[0:1], s0, v32
	s_and_saveexec_b64 s[10:11], s[0:1]
	s_cbranch_execz .LBB6_2846
; %bb.2841:                             ;   in Loop: Header=BB6_2784 Depth=1
	global_load_dwordx2 v[24:25], v29, s[2:3] offset:24 sc0 sc1
	s_waitcnt vmcnt(0)
	buffer_inv sc0 sc1
	global_load_dwordx2 v[2:3], v29, s[2:3] offset:40
	global_load_dwordx2 v[22:23], v29, s[2:3]
	s_waitcnt vmcnt(1)
	v_and_b32_e32 v2, v2, v24
	v_and_b32_e32 v3, v3, v25
	v_mul_lo_u32 v3, v3, 24
	v_mul_hi_u32 v27, v2, 24
	v_add_u32_e32 v3, v27, v3
	v_mul_lo_u32 v2, v2, 24
	s_waitcnt vmcnt(0)
	v_lshl_add_u64 v[2:3], v[22:23], 0, v[2:3]
	global_load_dwordx2 v[22:23], v[2:3], off sc0 sc1
	s_waitcnt vmcnt(0)
	global_atomic_cmpswap_x2 v[2:3], v29, v[22:25], s[2:3] offset:24 sc0 sc1
	s_waitcnt vmcnt(0)
	buffer_inv sc0 sc1
	v_cmp_ne_u64_e32 vcc, v[2:3], v[24:25]
	s_and_saveexec_b64 s[12:13], vcc
	s_cbranch_execz .LBB6_2845
; %bb.2842:                             ;   in Loop: Header=BB6_2784 Depth=1
	s_mov_b64 s[14:15], 0
.LBB6_2843:                             ;   Parent Loop BB6_2784 Depth=1
                                        ; =>  This Inner Loop Header: Depth=2
	s_sleep 1
	global_load_dwordx2 v[22:23], v29, s[2:3] offset:40
	global_load_dwordx2 v[30:31], v29, s[2:3]
	v_mov_b64_e32 v[24:25], v[2:3]
	s_waitcnt vmcnt(1)
	v_and_b32_e32 v2, v22, v24
	s_waitcnt vmcnt(0)
	v_mad_u64_u32 v[2:3], s[16:17], v2, 24, v[30:31]
	v_and_b32_e32 v23, v23, v25
	v_mov_b32_e32 v22, v3
	v_mad_u64_u32 v[22:23], s[16:17], v23, 24, v[22:23]
	v_mov_b32_e32 v3, v22
	global_load_dwordx2 v[22:23], v[2:3], off sc0 sc1
	s_waitcnt vmcnt(0)
	global_atomic_cmpswap_x2 v[2:3], v29, v[22:25], s[2:3] offset:24 sc0 sc1
	s_waitcnt vmcnt(0)
	buffer_inv sc0 sc1
	v_cmp_eq_u64_e32 vcc, v[2:3], v[24:25]
	s_or_b64 s[14:15], vcc, s[14:15]
	s_andn2_b64 exec, exec, s[14:15]
	s_cbranch_execnz .LBB6_2843
; %bb.2844:                             ;   in Loop: Header=BB6_2784 Depth=1
	s_or_b64 exec, exec, s[14:15]
.LBB6_2845:                             ;   in Loop: Header=BB6_2784 Depth=1
	s_or_b64 exec, exec, s[12:13]
.LBB6_2846:                             ;   in Loop: Header=BB6_2784 Depth=1
	s_or_b64 exec, exec, s[10:11]
	global_load_dwordx2 v[30:31], v29, s[2:3] offset:40
	global_load_dwordx4 v[22:25], v29, s[2:3]
	v_readfirstlane_b32 s11, v3
	v_readfirstlane_b32 s10, v2
	s_mov_b64 s[12:13], exec
	s_waitcnt vmcnt(1)
	v_readfirstlane_b32 s14, v30
	v_readfirstlane_b32 s15, v31
	s_and_b64 s[14:15], s[14:15], s[10:11]
	s_mul_i32 s16, s15, 24
	s_mul_hi_u32 s17, s14, 24
	s_add_i32 s17, s17, s16
	s_mul_i32 s16, s14, 24
	s_waitcnt vmcnt(0)
	v_lshl_add_u64 v[30:31], v[22:23], 0, s[16:17]
	s_and_saveexec_b64 s[16:17], s[0:1]
	s_cbranch_execz .LBB6_2848
; %bb.2847:                             ;   in Loop: Header=BB6_2784 Depth=1
	v_mov_b64_e32 v[2:3], s[12:13]
	global_store_dwordx4 v[30:31], v[2:5], off offset:8
.LBB6_2848:                             ;   in Loop: Header=BB6_2784 Depth=1
	s_or_b64 exec, exec, s[16:17]
	s_lshl_b64 s[12:13], s[14:15], 12
	v_lshl_add_u64 v[2:3], v[24:25], 0, s[12:13]
	v_cmp_gt_u64_e64 s[12:13], s[6:7], 56
	s_and_b64 s[12:13], s[12:13], exec
	s_cselect_b32 s12, 0, 2
	s_lshl_b32 s13, s8, 2
	s_add_i32 s13, s13, 28
	v_and_b32_e32 v6, 0xffffff1f, v6
	s_and_b32 s13, s13, 0x1e0
	v_or_b32_e32 v6, s12, v6
	v_or_b32_e32 v6, s13, v6
	v_readfirstlane_b32 s12, v2
	v_readfirstlane_b32 s13, v3
	s_nop 4
	global_store_dwordx4 v26, v[6:9], s[12:13]
	global_store_dwordx4 v26, v[10:13], s[12:13] offset:16
	global_store_dwordx4 v26, v[14:17], s[12:13] offset:32
	;; [unrolled: 1-line block ×3, first 2 shown]
	s_and_saveexec_b64 s[12:13], s[0:1]
	s_cbranch_execz .LBB6_2856
; %bb.2849:                             ;   in Loop: Header=BB6_2784 Depth=1
	global_load_dwordx2 v[14:15], v29, s[2:3] offset:32 sc0 sc1
	global_load_dwordx2 v[6:7], v29, s[2:3] offset:40
	v_mov_b32_e32 v12, s10
	v_mov_b32_e32 v13, s11
	s_waitcnt vmcnt(0)
	v_readfirstlane_b32 s14, v6
	v_readfirstlane_b32 s15, v7
	s_and_b64 s[14:15], s[14:15], s[10:11]
	s_mul_i32 s15, s15, 24
	s_mul_hi_u32 s16, s14, 24
	s_mul_i32 s14, s14, 24
	s_add_i32 s15, s16, s15
	v_lshl_add_u64 v[10:11], v[22:23], 0, s[14:15]
	global_store_dwordx2 v[10:11], v[14:15], off
	buffer_wbl2 sc0 sc1
	s_waitcnt vmcnt(0)
	global_atomic_cmpswap_x2 v[8:9], v29, v[12:15], s[2:3] offset:32 sc0 sc1
	s_waitcnt vmcnt(0)
	v_cmp_ne_u64_e32 vcc, v[8:9], v[14:15]
	s_and_saveexec_b64 s[14:15], vcc
	s_cbranch_execz .LBB6_2852
; %bb.2850:                             ;   in Loop: Header=BB6_2784 Depth=1
	s_mov_b64 s[16:17], 0
.LBB6_2851:                             ;   Parent Loop BB6_2784 Depth=1
                                        ; =>  This Inner Loop Header: Depth=2
	s_sleep 1
	global_store_dwordx2 v[10:11], v[8:9], off
	v_mov_b32_e32 v6, s10
	v_mov_b32_e32 v7, s11
	buffer_wbl2 sc0 sc1
	s_waitcnt vmcnt(0)
	global_atomic_cmpswap_x2 v[6:7], v29, v[6:9], s[2:3] offset:32 sc0 sc1
	s_waitcnt vmcnt(0)
	v_cmp_eq_u64_e32 vcc, v[6:7], v[8:9]
	s_or_b64 s[16:17], vcc, s[16:17]
	v_mov_b64_e32 v[8:9], v[6:7]
	s_andn2_b64 exec, exec, s[16:17]
	s_cbranch_execnz .LBB6_2851
.LBB6_2852:                             ;   in Loop: Header=BB6_2784 Depth=1
	s_or_b64 exec, exec, s[14:15]
	global_load_dwordx2 v[6:7], v29, s[2:3] offset:16
	s_mov_b64 s[16:17], exec
	v_mbcnt_lo_u32_b32 v8, s16, 0
	v_mbcnt_hi_u32_b32 v8, s17, v8
	v_cmp_eq_u32_e32 vcc, 0, v8
	s_and_saveexec_b64 s[14:15], vcc
	s_cbranch_execz .LBB6_2854
; %bb.2853:                             ;   in Loop: Header=BB6_2784 Depth=1
	s_bcnt1_i32_b64 s16, s[16:17]
	v_mov_b32_e32 v28, s16
	buffer_wbl2 sc0 sc1
	s_waitcnt vmcnt(0)
	global_atomic_add_x2 v[6:7], v[28:29], off offset:8 sc1
.LBB6_2854:                             ;   in Loop: Header=BB6_2784 Depth=1
	s_or_b64 exec, exec, s[14:15]
	s_waitcnt vmcnt(0)
	global_load_dwordx2 v[8:9], v[6:7], off offset:16
	s_waitcnt vmcnt(0)
	v_cmp_eq_u64_e32 vcc, 0, v[8:9]
	s_cbranch_vccnz .LBB6_2856
; %bb.2855:                             ;   in Loop: Header=BB6_2784 Depth=1
	global_load_dword v28, v[6:7], off offset:24
	s_waitcnt vmcnt(0)
	v_readfirstlane_b32 s14, v28
	s_and_b32 m0, s14, 0xffffff
	buffer_wbl2 sc0 sc1
	global_store_dwordx2 v[8:9], v[28:29], off sc0 sc1
	s_sendmsg sendmsg(MSG_INTERRUPT)
.LBB6_2856:                             ;   in Loop: Header=BB6_2784 Depth=1
	s_or_b64 exec, exec, s[12:13]
	v_mov_b32_e32 v27, v29
	v_lshl_add_u64 v[2:3], v[2:3], 0, v[26:27]
	s_branch .LBB6_2860
.LBB6_2857:                             ;   in Loop: Header=BB6_2860 Depth=2
	s_or_b64 exec, exec, s[12:13]
	v_readfirstlane_b32 s12, v6
	s_cmp_eq_u32 s12, 0
	s_cbranch_scc1 .LBB6_2859
; %bb.2858:                             ;   in Loop: Header=BB6_2860 Depth=2
	s_sleep 1
	s_cbranch_execnz .LBB6_2860
	s_branch .LBB6_2862
.LBB6_2859:                             ;   in Loop: Header=BB6_2784 Depth=1
	s_branch .LBB6_2862
.LBB6_2860:                             ;   Parent Loop BB6_2784 Depth=1
                                        ; =>  This Inner Loop Header: Depth=2
	v_mov_b32_e32 v6, 1
	s_and_saveexec_b64 s[12:13], s[0:1]
	s_cbranch_execz .LBB6_2857
; %bb.2861:                             ;   in Loop: Header=BB6_2860 Depth=2
	global_load_dword v6, v[30:31], off offset:20 sc0 sc1
	s_waitcnt vmcnt(0)
	buffer_inv sc0 sc1
	v_and_b32_e32 v6, 1, v6
	s_branch .LBB6_2857
.LBB6_2862:                             ;   in Loop: Header=BB6_2784 Depth=1
	global_load_dwordx4 v[6:9], v[2:3], off
	s_and_saveexec_b64 s[12:13], s[0:1]
	s_cbranch_execz .LBB6_2783
; %bb.2863:                             ;   in Loop: Header=BB6_2784 Depth=1
	global_load_dwordx2 v[2:3], v29, s[2:3] offset:40
	global_load_dwordx2 v[12:13], v29, s[2:3] offset:24 sc0 sc1
	global_load_dwordx2 v[8:9], v29, s[2:3]
	s_waitcnt vmcnt(2)
	v_readfirstlane_b32 s14, v2
	v_readfirstlane_b32 s15, v3
	s_add_u32 s16, s14, 1
	s_addc_u32 s17, s15, 0
	s_add_u32 s0, s16, s10
	s_addc_u32 s1, s17, s11
	s_cmp_eq_u64 s[0:1], 0
	s_cselect_b32 s1, s17, s1
	s_cselect_b32 s0, s16, s0
	s_and_b64 s[10:11], s[0:1], s[14:15]
	s_mul_i32 s11, s11, 24
	s_mul_hi_u32 s14, s10, 24
	s_mul_i32 s10, s10, 24
	s_add_i32 s11, s14, s11
	s_waitcnt vmcnt(0)
	v_lshl_add_u64 v[2:3], v[8:9], 0, s[10:11]
	v_mov_b32_e32 v10, s0
	global_store_dwordx2 v[2:3], v[12:13], off
	v_mov_b32_e32 v11, s1
	buffer_wbl2 sc0 sc1
	s_waitcnt vmcnt(0)
	global_atomic_cmpswap_x2 v[10:11], v29, v[10:13], s[2:3] offset:24 sc0 sc1
	s_waitcnt vmcnt(0)
	v_cmp_ne_u64_e32 vcc, v[10:11], v[12:13]
	s_and_b64 exec, exec, vcc
	s_cbranch_execz .LBB6_2783
; %bb.2864:                             ;   in Loop: Header=BB6_2784 Depth=1
	s_mov_b64 s[10:11], 0
.LBB6_2865:                             ;   Parent Loop BB6_2784 Depth=1
                                        ; =>  This Inner Loop Header: Depth=2
	s_sleep 1
	global_store_dwordx2 v[2:3], v[10:11], off
	v_mov_b32_e32 v8, s0
	v_mov_b32_e32 v9, s1
	buffer_wbl2 sc0 sc1
	s_waitcnt vmcnt(0)
	global_atomic_cmpswap_x2 v[8:9], v29, v[8:11], s[2:3] offset:24 sc0 sc1
	s_waitcnt vmcnt(0)
	v_cmp_eq_u64_e32 vcc, v[8:9], v[10:11]
	s_or_b64 s[10:11], vcc, s[10:11]
	v_mov_b64_e32 v[10:11], v[8:9]
	s_andn2_b64 exec, exec, s[10:11]
	s_cbranch_execnz .LBB6_2865
	s_branch .LBB6_2783
.LBB6_2866:
	s_mov_b64 s[0:1], 0
	s_branch .LBB6_2868
.LBB6_2867:
	s_mov_b64 s[0:1], -1
.LBB6_2868:
	s_and_b64 vcc, exec, s[0:1]
	s_cbranch_vccz .LBB6_2895
; %bb.2869:
	v_readfirstlane_b32 s0, v32
	s_waitcnt vmcnt(0)
	v_mov_b64_e32 v[8:9], 0
	v_cmp_eq_u32_e64 s[0:1], s0, v32
	s_and_saveexec_b64 s[4:5], s[0:1]
	s_cbranch_execz .LBB6_2875
; %bb.2870:
	v_mov_b32_e32 v2, 0
	global_load_dwordx2 v[6:7], v2, s[2:3] offset:24 sc0 sc1
	s_waitcnt vmcnt(0)
	buffer_inv sc0 sc1
	global_load_dwordx2 v[4:5], v2, s[2:3] offset:40
	global_load_dwordx2 v[8:9], v2, s[2:3]
	s_waitcnt vmcnt(1)
	v_and_b32_e32 v3, v4, v6
	v_and_b32_e32 v4, v5, v7
	v_mul_lo_u32 v4, v4, 24
	v_mul_hi_u32 v5, v3, 24
	v_add_u32_e32 v5, v5, v4
	v_mul_lo_u32 v4, v3, 24
	s_waitcnt vmcnt(0)
	v_lshl_add_u64 v[4:5], v[8:9], 0, v[4:5]
	global_load_dwordx2 v[4:5], v[4:5], off sc0 sc1
	s_waitcnt vmcnt(0)
	global_atomic_cmpswap_x2 v[8:9], v2, v[4:7], s[2:3] offset:24 sc0 sc1
	s_waitcnt vmcnt(0)
	buffer_inv sc0 sc1
	v_cmp_ne_u64_e32 vcc, v[8:9], v[6:7]
	s_and_saveexec_b64 s[6:7], vcc
	s_cbranch_execz .LBB6_2874
; %bb.2871:
	s_mov_b64 s[8:9], 0
.LBB6_2872:                             ; =>This Inner Loop Header: Depth=1
	s_sleep 1
	global_load_dwordx2 v[4:5], v2, s[2:3] offset:40
	global_load_dwordx2 v[10:11], v2, s[2:3]
	v_mov_b64_e32 v[6:7], v[8:9]
	s_waitcnt vmcnt(1)
	v_and_b32_e32 v4, v4, v6
	v_and_b32_e32 v3, v5, v7
	s_waitcnt vmcnt(0)
	v_mad_u64_u32 v[4:5], s[10:11], v4, 24, v[10:11]
	v_mov_b32_e32 v8, v5
	v_mad_u64_u32 v[8:9], s[10:11], v3, 24, v[8:9]
	v_mov_b32_e32 v5, v8
	global_load_dwordx2 v[4:5], v[4:5], off sc0 sc1
	s_waitcnt vmcnt(0)
	global_atomic_cmpswap_x2 v[8:9], v2, v[4:7], s[2:3] offset:24 sc0 sc1
	s_waitcnt vmcnt(0)
	buffer_inv sc0 sc1
	v_cmp_eq_u64_e32 vcc, v[8:9], v[6:7]
	s_or_b64 s[8:9], vcc, s[8:9]
	s_andn2_b64 exec, exec, s[8:9]
	s_cbranch_execnz .LBB6_2872
; %bb.2873:
	s_or_b64 exec, exec, s[8:9]
.LBB6_2874:
	s_or_b64 exec, exec, s[6:7]
.LBB6_2875:
	s_or_b64 exec, exec, s[4:5]
	v_mov_b32_e32 v2, 0
	global_load_dwordx2 v[10:11], v2, s[2:3] offset:40
	global_load_dwordx4 v[4:7], v2, s[2:3]
	v_readfirstlane_b32 s5, v9
	v_readfirstlane_b32 s4, v8
	s_mov_b64 s[6:7], exec
	s_waitcnt vmcnt(1)
	v_readfirstlane_b32 s8, v10
	v_readfirstlane_b32 s9, v11
	s_and_b64 s[8:9], s[8:9], s[4:5]
	s_mul_i32 s10, s9, 24
	s_mul_hi_u32 s11, s8, 24
	s_add_i32 s11, s11, s10
	s_mul_i32 s10, s8, 24
	s_waitcnt vmcnt(0)
	v_lshl_add_u64 v[8:9], v[4:5], 0, s[10:11]
	s_and_saveexec_b64 s[10:11], s[0:1]
	s_cbranch_execz .LBB6_2877
; %bb.2876:
	v_mov_b64_e32 v[10:11], s[6:7]
	v_mov_b32_e32 v12, 2
	v_mov_b32_e32 v13, 1
	global_store_dwordx4 v[8:9], v[10:13], off offset:8
.LBB6_2877:
	s_or_b64 exec, exec, s[10:11]
	s_lshl_b64 s[6:7], s[8:9], 12
	v_lshl_add_u64 v[6:7], v[6:7], 0, s[6:7]
	s_movk_i32 s6, 0xff1d
	s_mov_b32 s8, 0
	v_and_or_b32 v0, v0, s6, 34
	v_mov_b32_e32 v3, v2
	v_readfirstlane_b32 s6, v6
	v_readfirstlane_b32 s7, v7
	s_mov_b32 s9, s8
	s_mov_b32 s10, s8
	;; [unrolled: 1-line block ×3, first 2 shown]
	s_nop 1
	global_store_dwordx4 v26, v[0:3], s[6:7]
	s_nop 1
	v_mov_b64_e32 v[0:1], s[8:9]
	v_mov_b64_e32 v[2:3], s[10:11]
	global_store_dwordx4 v26, v[0:3], s[6:7] offset:16
	global_store_dwordx4 v26, v[0:3], s[6:7] offset:32
	;; [unrolled: 1-line block ×3, first 2 shown]
	s_and_saveexec_b64 s[6:7], s[0:1]
	s_cbranch_execz .LBB6_2885
; %bb.2878:
	v_mov_b32_e32 v6, 0
	global_load_dwordx2 v[12:13], v6, s[2:3] offset:32 sc0 sc1
	global_load_dwordx2 v[0:1], v6, s[2:3] offset:40
	v_mov_b32_e32 v10, s4
	v_mov_b32_e32 v11, s5
	s_waitcnt vmcnt(0)
	v_readfirstlane_b32 s8, v0
	v_readfirstlane_b32 s9, v1
	s_and_b64 s[8:9], s[8:9], s[4:5]
	s_mul_i32 s9, s9, 24
	s_mul_hi_u32 s10, s8, 24
	s_mul_i32 s8, s8, 24
	s_add_i32 s9, s10, s9
	v_lshl_add_u64 v[4:5], v[4:5], 0, s[8:9]
	global_store_dwordx2 v[4:5], v[12:13], off
	buffer_wbl2 sc0 sc1
	s_waitcnt vmcnt(0)
	global_atomic_cmpswap_x2 v[2:3], v6, v[10:13], s[2:3] offset:32 sc0 sc1
	s_waitcnt vmcnt(0)
	v_cmp_ne_u64_e32 vcc, v[2:3], v[12:13]
	s_and_saveexec_b64 s[8:9], vcc
	s_cbranch_execz .LBB6_2881
; %bb.2879:
	s_mov_b64 s[10:11], 0
.LBB6_2880:                             ; =>This Inner Loop Header: Depth=1
	s_sleep 1
	global_store_dwordx2 v[4:5], v[2:3], off
	v_mov_b32_e32 v0, s4
	v_mov_b32_e32 v1, s5
	buffer_wbl2 sc0 sc1
	s_waitcnt vmcnt(0)
	global_atomic_cmpswap_x2 v[0:1], v6, v[0:3], s[2:3] offset:32 sc0 sc1
	s_waitcnt vmcnt(0)
	v_cmp_eq_u64_e32 vcc, v[0:1], v[2:3]
	s_or_b64 s[10:11], vcc, s[10:11]
	v_mov_b64_e32 v[2:3], v[0:1]
	s_andn2_b64 exec, exec, s[10:11]
	s_cbranch_execnz .LBB6_2880
.LBB6_2881:
	s_or_b64 exec, exec, s[8:9]
	v_mov_b32_e32 v3, 0
	global_load_dwordx2 v[0:1], v3, s[2:3] offset:16
	s_mov_b64 s[8:9], exec
	v_mbcnt_lo_u32_b32 v2, s8, 0
	v_mbcnt_hi_u32_b32 v2, s9, v2
	v_cmp_eq_u32_e32 vcc, 0, v2
	s_and_saveexec_b64 s[10:11], vcc
	s_cbranch_execz .LBB6_2883
; %bb.2882:
	s_bcnt1_i32_b64 s8, s[8:9]
	v_mov_b32_e32 v2, s8
	buffer_wbl2 sc0 sc1
	s_waitcnt vmcnt(0)
	global_atomic_add_x2 v[0:1], v[2:3], off offset:8 sc1
.LBB6_2883:
	s_or_b64 exec, exec, s[10:11]
	s_waitcnt vmcnt(0)
	global_load_dwordx2 v[2:3], v[0:1], off offset:16
	s_waitcnt vmcnt(0)
	v_cmp_eq_u64_e32 vcc, 0, v[2:3]
	s_cbranch_vccnz .LBB6_2885
; %bb.2884:
	global_load_dword v0, v[0:1], off offset:24
	v_mov_b32_e32 v1, 0
	s_waitcnt vmcnt(0)
	v_readfirstlane_b32 s8, v0
	s_and_b32 m0, s8, 0xffffff
	buffer_wbl2 sc0 sc1
	global_store_dwordx2 v[2:3], v[0:1], off sc0 sc1
	s_sendmsg sendmsg(MSG_INTERRUPT)
.LBB6_2885:
	s_or_b64 exec, exec, s[6:7]
	s_branch .LBB6_2889
.LBB6_2886:                             ;   in Loop: Header=BB6_2889 Depth=1
	s_or_b64 exec, exec, s[6:7]
	v_readfirstlane_b32 s6, v0
	s_cmp_eq_u32 s6, 0
	s_cbranch_scc1 .LBB6_2888
; %bb.2887:                             ;   in Loop: Header=BB6_2889 Depth=1
	s_sleep 1
	s_cbranch_execnz .LBB6_2889
	s_branch .LBB6_2891
.LBB6_2888:
	s_branch .LBB6_2891
.LBB6_2889:                             ; =>This Inner Loop Header: Depth=1
	v_mov_b32_e32 v0, 1
	s_and_saveexec_b64 s[6:7], s[0:1]
	s_cbranch_execz .LBB6_2886
; %bb.2890:                             ;   in Loop: Header=BB6_2889 Depth=1
	global_load_dword v0, v[8:9], off offset:20 sc0 sc1
	s_waitcnt vmcnt(0)
	buffer_inv sc0 sc1
	v_and_b32_e32 v0, 1, v0
	s_branch .LBB6_2886
.LBB6_2891:
	s_and_saveexec_b64 s[6:7], s[0:1]
	s_cbranch_execz .LBB6_2894
; %bb.2892:
	v_mov_b32_e32 v6, 0
	global_load_dwordx2 v[0:1], v6, s[2:3] offset:40
	global_load_dwordx2 v[10:11], v6, s[2:3] offset:24 sc0 sc1
	global_load_dwordx2 v[2:3], v6, s[2:3]
	s_waitcnt vmcnt(2)
	v_readfirstlane_b32 s8, v0
	v_readfirstlane_b32 s9, v1
	s_add_u32 s10, s8, 1
	s_addc_u32 s11, s9, 0
	s_add_u32 s0, s10, s4
	s_addc_u32 s1, s11, s5
	s_cmp_eq_u64 s[0:1], 0
	s_cselect_b32 s1, s11, s1
	s_cselect_b32 s0, s10, s0
	s_and_b64 s[4:5], s[0:1], s[8:9]
	s_mul_i32 s5, s5, 24
	s_mul_hi_u32 s8, s4, 24
	s_mul_i32 s4, s4, 24
	s_add_i32 s5, s8, s5
	s_waitcnt vmcnt(0)
	v_lshl_add_u64 v[4:5], v[2:3], 0, s[4:5]
	v_mov_b32_e32 v8, s0
	global_store_dwordx2 v[4:5], v[10:11], off
	v_mov_b32_e32 v9, s1
	buffer_wbl2 sc0 sc1
	s_waitcnt vmcnt(0)
	global_atomic_cmpswap_x2 v[2:3], v6, v[8:11], s[2:3] offset:24 sc0 sc1
	s_mov_b64 s[4:5], 0
	s_waitcnt vmcnt(0)
	v_cmp_ne_u64_e32 vcc, v[2:3], v[10:11]
	s_and_b64 exec, exec, vcc
	s_cbranch_execz .LBB6_2894
.LBB6_2893:                             ; =>This Inner Loop Header: Depth=1
	s_sleep 1
	global_store_dwordx2 v[4:5], v[2:3], off
	v_mov_b32_e32 v0, s0
	v_mov_b32_e32 v1, s1
	buffer_wbl2 sc0 sc1
	s_waitcnt vmcnt(0)
	global_atomic_cmpswap_x2 v[0:1], v6, v[0:3], s[2:3] offset:24 sc0 sc1
	s_waitcnt vmcnt(0)
	v_cmp_eq_u64_e32 vcc, v[0:1], v[2:3]
	s_or_b64 s[4:5], vcc, s[4:5]
	v_mov_b64_e32 v[2:3], v[0:1]
	s_andn2_b64 exec, exec, s[4:5]
	s_cbranch_execnz .LBB6_2893
.LBB6_2894:
	s_or_b64 exec, exec, s[6:7]
.LBB6_2895:
	s_getpc_b64 s[0:1]
	s_add_u32 s0, s0, .str.29@rel32@lo+4
	s_addc_u32 s1, s1, .str.29@rel32@hi+12
	s_getpc_b64 s[2:3]
	s_add_u32 s2, s2, .str.19@rel32@lo+4
	s_addc_u32 s3, s3, .str.19@rel32@hi+12
	s_getpc_b64 s[4:5]
	s_add_u32 s4, s4, __PRETTY_FUNCTION__._ZN7VecsMemIjLi8192EE5fetchEi@rel32@lo+4
	s_addc_u32 s5, s5, __PRETTY_FUNCTION__._ZN7VecsMemIjLi8192EE5fetchEi@rel32@hi+12
	s_getpc_b64 s[6:7]
	s_add_u32 s6, s6, __assert_fail@rel32@lo+4
	s_addc_u32 s7, s7, __assert_fail@rel32@hi+12
	s_mov_b64 s[8:9], s[64:65]
	s_waitcnt vmcnt(0)
	v_mov_b32_e32 v0, s0
	v_mov_b32_e32 v1, s1
	v_mov_b32_e32 v2, s2
	v_mov_b32_e32 v3, s3
	v_mov_b32_e32 v4, 12
	v_mov_b32_e32 v5, s4
	v_mov_b32_e32 v6, s5
	s_swappc_b64 s[30:31], s[6:7]
	s_or_b64 s[24:25], s[24:25], exec
.LBB6_2896:
	s_or_b64 exec, exec, s[22:23]
	s_andn2_b64 s[0:1], s[70:71], exec
	s_and_b64 s[2:3], s[24:25], exec
	s_or_b64 s[22:23], s[0:1], s[2:3]
.LBB6_2897:
	s_andn2_saveexec_b64 s[24:25], s[40:41]
	s_cbranch_execz .LBB6_2899
; %bb.2898:
	s_getpc_b64 s[0:1]
	s_add_u32 s0, s0, .str.38@rel32@lo+4
	s_addc_u32 s1, s1, .str.38@rel32@hi+12
	s_getpc_b64 s[2:3]
	s_add_u32 s2, s2, .str.31@rel32@lo+4
	s_addc_u32 s3, s3, .str.31@rel32@hi+12
	s_getpc_b64 s[4:5]
	s_add_u32 s4, s4, __PRETTY_FUNCTION__._ZN3sop17sopDivideInternalEPNS_3SopES1_S1_S1_P7VecsMemIjLi8192EE@rel32@lo+4
	s_addc_u32 s5, s5, __PRETTY_FUNCTION__._ZN3sop17sopDivideInternalEPNS_3SopES1_S1_S1_P7VecsMemIjLi8192EE@rel32@hi+12
	s_getpc_b64 s[6:7]
	s_add_u32 s6, s6, __assert_fail@rel32@lo+4
	s_addc_u32 s7, s7, __assert_fail@rel32@hi+12
	s_mov_b64 s[8:9], s[64:65]
	v_mov_b32_e32 v0, s0
	v_mov_b32_e32 v1, s1
	;; [unrolled: 1-line block ×7, first 2 shown]
	s_swappc_b64 s[30:31], s[6:7]
	s_or_b64 s[22:23], s[22:23], exec
.LBB6_2899:
	s_or_b64 exec, exec, s[24:25]
	s_andn2_b64 s[0:1], s[70:71], exec
	s_and_b64 s[2:3], s[22:23], exec
	s_or_b64 s[84:85], s[0:1], s[2:3]
                                        ; implicit-def: $vgpr54_vgpr55
                                        ; implicit-def: $vgpr42_vgpr43
                                        ; implicit-def: $vgpr44
.LBB6_2900:
	s_andn2_saveexec_b64 s[86:87], s[28:29]
	s_cbranch_execz .LBB6_2902
; %bb.2901:
	flat_load_dwordx3 v[2:4], v[54:55] offset:4
	s_getpc_b64 s[0:1]
	s_add_u32 s0, s0, _ZN3sop19sopFactorTrivialRecEPjiiPN8subgUtil4SubgILi256EEE@rel32@lo+4
	s_addc_u32 s1, s1, _ZN3sop19sopFactorTrivialRecEPjiiPN8subgUtil4SubgILi256EEE@rel32@hi+12
	s_mov_b64 s[8:9], s[64:65]
	v_mov_b32_e32 v5, v43
	s_waitcnt vmcnt(0) lgkmcnt(0)
	v_mov_b32_e32 v0, v3
	v_mov_b32_e32 v1, v4
	;; [unrolled: 1-line block ×4, first 2 shown]
	s_swappc_b64 s[30:31], s[0:1]
	v_mov_b32_e32 v41, v0
.LBB6_2902:
	s_or_b64 exec, exec, s[86:87]
	s_andn2_b64 s[0:1], s[70:71], exec
	s_and_b64 s[2:3], s[84:85], exec
	s_or_b64 s[70:71], s[0:1], s[2:3]
.LBB6_2903:
	s_or_b64 exec, exec, s[82:83]
	s_and_saveexec_b64 s[0:1], s[80:81]
	s_xor_b64 s[22:23], exec, s[0:1]
	s_cbranch_execz .LBB6_3043
; %bb.2904:
	s_load_dwordx2 s[2:3], s[64:65], 0x50
	v_mbcnt_lo_u32_b32 v0, -1, 0
	v_mbcnt_hi_u32_b32 v32, -1, v0
	v_mov_b64_e32 v[4:5], 0
	v_readfirstlane_b32 s0, v32
	s_nop 1
	v_cmp_eq_u32_e64 s[0:1], s0, v32
	s_and_saveexec_b64 s[4:5], s[0:1]
	s_cbranch_execz .LBB6_2910
; %bb.2905:
	v_mov_b32_e32 v0, 0
	s_waitcnt lgkmcnt(0)
	global_load_dwordx2 v[6:7], v0, s[2:3] offset:24 sc0 sc1
	s_waitcnt vmcnt(0)
	buffer_inv sc0 sc1
	global_load_dwordx2 v[2:3], v0, s[2:3] offset:40
	global_load_dwordx2 v[4:5], v0, s[2:3]
	s_waitcnt vmcnt(1)
	v_and_b32_e32 v1, v2, v6
	v_and_b32_e32 v2, v3, v7
	v_mul_lo_u32 v2, v2, 24
	v_mul_hi_u32 v3, v1, 24
	v_add_u32_e32 v3, v3, v2
	v_mul_lo_u32 v2, v1, 24
	s_waitcnt vmcnt(0)
	v_lshl_add_u64 v[2:3], v[4:5], 0, v[2:3]
	global_load_dwordx2 v[4:5], v[2:3], off sc0 sc1
	s_waitcnt vmcnt(0)
	global_atomic_cmpswap_x2 v[4:5], v0, v[4:7], s[2:3] offset:24 sc0 sc1
	s_waitcnt vmcnt(0)
	buffer_inv sc0 sc1
	v_cmp_ne_u64_e32 vcc, v[4:5], v[6:7]
	s_and_saveexec_b64 s[6:7], vcc
	s_cbranch_execz .LBB6_2909
; %bb.2906:
	s_mov_b64 s[8:9], 0
.LBB6_2907:                             ; =>This Inner Loop Header: Depth=1
	s_sleep 1
	global_load_dwordx2 v[2:3], v0, s[2:3] offset:40
	global_load_dwordx2 v[8:9], v0, s[2:3]
	v_mov_b64_e32 v[6:7], v[4:5]
	s_waitcnt vmcnt(1)
	v_and_b32_e32 v2, v2, v6
	v_and_b32_e32 v1, v3, v7
	s_waitcnt vmcnt(0)
	v_mad_u64_u32 v[2:3], s[10:11], v2, 24, v[8:9]
	v_mov_b32_e32 v4, v3
	v_mad_u64_u32 v[4:5], s[10:11], v1, 24, v[4:5]
	v_mov_b32_e32 v3, v4
	global_load_dwordx2 v[4:5], v[2:3], off sc0 sc1
	s_waitcnt vmcnt(0)
	global_atomic_cmpswap_x2 v[4:5], v0, v[4:7], s[2:3] offset:24 sc0 sc1
	s_waitcnt vmcnt(0)
	buffer_inv sc0 sc1
	v_cmp_eq_u64_e32 vcc, v[4:5], v[6:7]
	s_or_b64 s[8:9], vcc, s[8:9]
	s_andn2_b64 exec, exec, s[8:9]
	s_cbranch_execnz .LBB6_2907
; %bb.2908:
	s_or_b64 exec, exec, s[8:9]
.LBB6_2909:
	s_or_b64 exec, exec, s[6:7]
.LBB6_2910:
	s_or_b64 exec, exec, s[4:5]
	v_mov_b32_e32 v27, 0
	s_waitcnt lgkmcnt(0)
	global_load_dwordx2 v[6:7], v27, s[2:3] offset:40
	global_load_dwordx4 v[0:3], v27, s[2:3]
	v_readfirstlane_b32 s5, v5
	v_readfirstlane_b32 s4, v4
	s_mov_b64 s[6:7], exec
	s_waitcnt vmcnt(0)
	v_readfirstlane_b32 s8, v6
	v_readfirstlane_b32 s9, v7
	s_and_b64 s[8:9], s[8:9], s[4:5]
	s_mul_i32 s10, s9, 24
	s_mul_hi_u32 s11, s8, 24
	s_add_i32 s11, s11, s10
	s_mul_i32 s10, s8, 24
	v_lshl_add_u64 v[4:5], v[0:1], 0, s[10:11]
	s_and_saveexec_b64 s[10:11], s[0:1]
	s_cbranch_execz .LBB6_2912
; %bb.2911:
	v_mov_b64_e32 v[6:7], s[6:7]
	v_mov_b32_e32 v8, 2
	v_mov_b32_e32 v9, 1
	global_store_dwordx4 v[4:5], v[6:9], off offset:8
.LBB6_2912:
	s_or_b64 exec, exec, s[10:11]
	s_lshl_b64 s[6:7], s[8:9], 12
	v_lshl_add_u64 v[6:7], v[2:3], 0, s[6:7]
	s_mov_b32 s8, 0
	v_lshlrev_b32_e32 v26, 6, v32
	v_mov_b32_e32 v8, 33
	v_mov_b32_e32 v9, v27
	;; [unrolled: 1-line block ×4, first 2 shown]
	v_readfirstlane_b32 s6, v6
	v_readfirstlane_b32 s7, v7
	s_mov_b32 s9, s8
	s_mov_b32 s10, s8
	;; [unrolled: 1-line block ×3, first 2 shown]
	s_nop 1
	global_store_dwordx4 v26, v[8:11], s[6:7]
	s_nop 1
	v_mov_b64_e32 v[8:9], s[8:9]
	v_mov_b64_e32 v[10:11], s[10:11]
	global_store_dwordx4 v26, v[8:11], s[6:7] offset:16
	global_store_dwordx4 v26, v[8:11], s[6:7] offset:32
	;; [unrolled: 1-line block ×3, first 2 shown]
	s_and_saveexec_b64 s[6:7], s[0:1]
	s_cbranch_execz .LBB6_2920
; %bb.2913:
	v_mov_b32_e32 v10, 0
	global_load_dwordx2 v[14:15], v10, s[2:3] offset:32 sc0 sc1
	global_load_dwordx2 v[2:3], v10, s[2:3] offset:40
	v_mov_b32_e32 v12, s4
	v_mov_b32_e32 v13, s5
	s_waitcnt vmcnt(0)
	v_and_b32_e32 v2, s4, v2
	v_and_b32_e32 v3, s5, v3
	v_mul_lo_u32 v3, v3, 24
	v_mul_hi_u32 v8, v2, 24
	v_mul_lo_u32 v2, v2, 24
	v_add_u32_e32 v3, v8, v3
	v_lshl_add_u64 v[8:9], v[0:1], 0, v[2:3]
	global_store_dwordx2 v[8:9], v[14:15], off
	buffer_wbl2 sc0 sc1
	s_waitcnt vmcnt(0)
	global_atomic_cmpswap_x2 v[2:3], v10, v[12:15], s[2:3] offset:32 sc0 sc1
	s_waitcnt vmcnt(0)
	v_cmp_ne_u64_e32 vcc, v[2:3], v[14:15]
	s_and_saveexec_b64 s[8:9], vcc
	s_cbranch_execz .LBB6_2916
; %bb.2914:
	s_mov_b64 s[10:11], 0
.LBB6_2915:                             ; =>This Inner Loop Header: Depth=1
	s_sleep 1
	global_store_dwordx2 v[8:9], v[2:3], off
	v_mov_b32_e32 v0, s4
	v_mov_b32_e32 v1, s5
	buffer_wbl2 sc0 sc1
	s_waitcnt vmcnt(0)
	global_atomic_cmpswap_x2 v[0:1], v10, v[0:3], s[2:3] offset:32 sc0 sc1
	s_waitcnt vmcnt(0)
	v_cmp_eq_u64_e32 vcc, v[0:1], v[2:3]
	s_or_b64 s[10:11], vcc, s[10:11]
	v_mov_b64_e32 v[2:3], v[0:1]
	s_andn2_b64 exec, exec, s[10:11]
	s_cbranch_execnz .LBB6_2915
.LBB6_2916:
	s_or_b64 exec, exec, s[8:9]
	v_mov_b32_e32 v3, 0
	global_load_dwordx2 v[0:1], v3, s[2:3] offset:16
	s_mov_b64 s[8:9], exec
	v_mbcnt_lo_u32_b32 v2, s8, 0
	v_mbcnt_hi_u32_b32 v2, s9, v2
	v_cmp_eq_u32_e32 vcc, 0, v2
	s_and_saveexec_b64 s[10:11], vcc
	s_cbranch_execz .LBB6_2918
; %bb.2917:
	s_bcnt1_i32_b64 s8, s[8:9]
	v_mov_b32_e32 v2, s8
	buffer_wbl2 sc0 sc1
	s_waitcnt vmcnt(0)
	global_atomic_add_x2 v[0:1], v[2:3], off offset:8 sc1
.LBB6_2918:
	s_or_b64 exec, exec, s[10:11]
	s_waitcnt vmcnt(0)
	global_load_dwordx2 v[2:3], v[0:1], off offset:16
	s_waitcnt vmcnt(0)
	v_cmp_eq_u64_e32 vcc, 0, v[2:3]
	s_cbranch_vccnz .LBB6_2920
; %bb.2919:
	global_load_dword v0, v[0:1], off offset:24
	v_mov_b32_e32 v1, 0
	s_waitcnt vmcnt(0)
	v_readfirstlane_b32 s8, v0
	s_and_b32 m0, s8, 0xffffff
	buffer_wbl2 sc0 sc1
	global_store_dwordx2 v[2:3], v[0:1], off sc0 sc1
	s_sendmsg sendmsg(MSG_INTERRUPT)
.LBB6_2920:
	s_or_b64 exec, exec, s[6:7]
	v_lshl_add_u64 v[0:1], v[6:7], 0, v[26:27]
	s_branch .LBB6_2924
.LBB6_2921:                             ;   in Loop: Header=BB6_2924 Depth=1
	s_or_b64 exec, exec, s[6:7]
	v_readfirstlane_b32 s6, v2
	s_cmp_eq_u32 s6, 0
	s_cbranch_scc1 .LBB6_2923
; %bb.2922:                             ;   in Loop: Header=BB6_2924 Depth=1
	s_sleep 1
	s_cbranch_execnz .LBB6_2924
	s_branch .LBB6_2926
.LBB6_2923:
	s_branch .LBB6_2926
.LBB6_2924:                             ; =>This Inner Loop Header: Depth=1
	v_mov_b32_e32 v2, 1
	s_and_saveexec_b64 s[6:7], s[0:1]
	s_cbranch_execz .LBB6_2921
; %bb.2925:                             ;   in Loop: Header=BB6_2924 Depth=1
	global_load_dword v2, v[4:5], off offset:20 sc0 sc1
	s_waitcnt vmcnt(0)
	buffer_inv sc0 sc1
	v_and_b32_e32 v2, 1, v2
	s_branch .LBB6_2921
.LBB6_2926:
	global_load_dwordx2 v[0:1], v[0:1], off
	s_and_saveexec_b64 s[6:7], s[0:1]
	s_cbranch_execz .LBB6_2929
; %bb.2927:
	v_mov_b32_e32 v8, 0
	global_load_dwordx2 v[2:3], v8, s[2:3] offset:40
	global_load_dwordx2 v[12:13], v8, s[2:3] offset:24 sc0 sc1
	global_load_dwordx2 v[4:5], v8, s[2:3]
	s_waitcnt vmcnt(2)
	v_readfirstlane_b32 s8, v2
	v_readfirstlane_b32 s9, v3
	s_add_u32 s10, s8, 1
	s_addc_u32 s11, s9, 0
	s_add_u32 s0, s10, s4
	s_addc_u32 s1, s11, s5
	s_cmp_eq_u64 s[0:1], 0
	s_cselect_b32 s1, s11, s1
	s_cselect_b32 s0, s10, s0
	s_and_b64 s[4:5], s[0:1], s[8:9]
	s_mul_i32 s5, s5, 24
	s_mul_hi_u32 s8, s4, 24
	s_mul_i32 s4, s4, 24
	s_add_i32 s5, s8, s5
	s_waitcnt vmcnt(0)
	v_lshl_add_u64 v[6:7], v[4:5], 0, s[4:5]
	v_mov_b32_e32 v10, s0
	global_store_dwordx2 v[6:7], v[12:13], off
	v_mov_b32_e32 v11, s1
	buffer_wbl2 sc0 sc1
	s_waitcnt vmcnt(0)
	global_atomic_cmpswap_x2 v[4:5], v8, v[10:13], s[2:3] offset:24 sc0 sc1
	s_mov_b64 s[4:5], 0
	s_waitcnt vmcnt(0)
	v_cmp_ne_u64_e32 vcc, v[4:5], v[12:13]
	s_and_b64 exec, exec, vcc
	s_cbranch_execz .LBB6_2929
.LBB6_2928:                             ; =>This Inner Loop Header: Depth=1
	s_sleep 1
	global_store_dwordx2 v[6:7], v[4:5], off
	v_mov_b32_e32 v2, s0
	v_mov_b32_e32 v3, s1
	buffer_wbl2 sc0 sc1
	s_waitcnt vmcnt(0)
	global_atomic_cmpswap_x2 v[2:3], v8, v[2:5], s[2:3] offset:24 sc0 sc1
	s_waitcnt vmcnt(0)
	v_cmp_eq_u64_e32 vcc, v[2:3], v[4:5]
	s_or_b64 s[4:5], vcc, s[4:5]
	v_mov_b64_e32 v[4:5], v[2:3]
	s_andn2_b64 exec, exec, s[4:5]
	s_cbranch_execnz .LBB6_2928
.LBB6_2929:
	s_or_b64 exec, exec, s[6:7]
	s_getpc_b64 s[4:5]
	s_add_u32 s4, s4, .str.28@rel32@lo+4
	s_addc_u32 s5, s5, .str.28@rel32@hi+12
	s_cmp_lg_u64 s[4:5], 0
	s_cbranch_scc0 .LBB6_3015
; %bb.2930:
	s_waitcnt vmcnt(0)
	v_and_b32_e32 v6, -3, v0
	v_mov_b32_e32 v7, v1
	s_mov_b64 s[6:7], 35
	v_mov_b32_e32 v29, 0
	v_mov_b32_e32 v4, 2
	;; [unrolled: 1-line block ×3, first 2 shown]
	s_branch .LBB6_2932
.LBB6_2931:                             ;   in Loop: Header=BB6_2932 Depth=1
	s_or_b64 exec, exec, s[12:13]
	s_sub_u32 s6, s6, s8
	s_subb_u32 s7, s7, s9
	s_add_u32 s4, s4, s8
	s_addc_u32 s5, s5, s9
	s_cmp_lg_u64 s[6:7], 0
	s_cbranch_scc0 .LBB6_3014
.LBB6_2932:                             ; =>This Loop Header: Depth=1
                                        ;     Child Loop BB6_2935 Depth 2
                                        ;     Child Loop BB6_2943 Depth 2
	;; [unrolled: 1-line block ×11, first 2 shown]
	v_cmp_lt_u64_e64 s[0:1], s[6:7], 56
	s_and_b64 s[0:1], s[0:1], exec
	s_cselect_b32 s9, s7, 0
	s_cselect_b32 s8, s6, 56
	v_cmp_gt_u64_e64 s[10:11], s[6:7], 7
	s_add_u32 s0, s4, 8
	s_addc_u32 s1, s5, 0
	s_and_b64 vcc, exec, s[10:11]
	s_cbranch_vccnz .LBB6_2936
; %bb.2933:                             ;   in Loop: Header=BB6_2932 Depth=1
	s_cmp_eq_u64 s[6:7], 0
	s_cbranch_scc1 .LBB6_2937
; %bb.2934:                             ;   in Loop: Header=BB6_2932 Depth=1
	s_lshl_b64 s[0:1], s[8:9], 3
	s_mov_b64 s[10:11], 0
	s_waitcnt vmcnt(0)
	v_mov_b64_e32 v[8:9], 0
	s_mov_b64 s[12:13], s[4:5]
.LBB6_2935:                             ;   Parent Loop BB6_2932 Depth=1
                                        ; =>  This Inner Loop Header: Depth=2
	global_load_ubyte v2, v29, s[12:13]
	s_waitcnt vmcnt(0)
	v_and_b32_e32 v28, 0xffff, v2
	v_lshlrev_b64 v[2:3], s10, v[28:29]
	s_add_u32 s10, s10, 8
	s_addc_u32 s11, s11, 0
	s_add_u32 s12, s12, 1
	s_addc_u32 s13, s13, 0
	v_or_b32_e32 v8, v2, v8
	s_cmp_lg_u32 s0, s10
	v_or_b32_e32 v9, v3, v9
	s_cbranch_scc1 .LBB6_2935
	s_branch .LBB6_2938
.LBB6_2936:                             ;   in Loop: Header=BB6_2932 Depth=1
	s_mov_b32 s14, 0
	s_branch .LBB6_2939
.LBB6_2937:                             ;   in Loop: Header=BB6_2932 Depth=1
	s_waitcnt vmcnt(0)
	v_mov_b64_e32 v[8:9], 0
.LBB6_2938:                             ;   in Loop: Header=BB6_2932 Depth=1
	s_mov_b64 s[0:1], s[4:5]
	s_mov_b32 s14, 0
	s_cbranch_execnz .LBB6_2940
.LBB6_2939:                             ;   in Loop: Header=BB6_2932 Depth=1
	global_load_dwordx2 v[8:9], v29, s[4:5]
	s_add_i32 s14, s8, -8
.LBB6_2940:                             ;   in Loop: Header=BB6_2932 Depth=1
	s_add_u32 s10, s0, 8
	s_addc_u32 s11, s1, 0
	s_cmp_gt_u32 s14, 7
	s_cbranch_scc1 .LBB6_2944
; %bb.2941:                             ;   in Loop: Header=BB6_2932 Depth=1
	s_cmp_eq_u32 s14, 0
	s_cbranch_scc1 .LBB6_2945
; %bb.2942:                             ;   in Loop: Header=BB6_2932 Depth=1
	s_mov_b64 s[10:11], 0
	v_mov_b64_e32 v[10:11], 0
	s_mov_b64 s[12:13], 0
.LBB6_2943:                             ;   Parent Loop BB6_2932 Depth=1
                                        ; =>  This Inner Loop Header: Depth=2
	s_add_u32 s16, s0, s12
	s_addc_u32 s17, s1, s13
	global_load_ubyte v2, v29, s[16:17]
	s_add_u32 s12, s12, 1
	s_addc_u32 s13, s13, 0
	s_waitcnt vmcnt(0)
	v_and_b32_e32 v28, 0xffff, v2
	v_lshlrev_b64 v[2:3], s10, v[28:29]
	s_add_u32 s10, s10, 8
	s_addc_u32 s11, s11, 0
	v_or_b32_e32 v10, v2, v10
	s_cmp_lg_u32 s14, s12
	v_or_b32_e32 v11, v3, v11
	s_cbranch_scc1 .LBB6_2943
	s_branch .LBB6_2946
.LBB6_2944:                             ;   in Loop: Header=BB6_2932 Depth=1
                                        ; implicit-def: $vgpr10_vgpr11
	s_mov_b32 s15, 0
	s_branch .LBB6_2947
.LBB6_2945:                             ;   in Loop: Header=BB6_2932 Depth=1
	v_mov_b64_e32 v[10:11], 0
.LBB6_2946:                             ;   in Loop: Header=BB6_2932 Depth=1
	s_mov_b64 s[10:11], s[0:1]
	s_mov_b32 s15, 0
	s_cbranch_execnz .LBB6_2948
.LBB6_2947:                             ;   in Loop: Header=BB6_2932 Depth=1
	global_load_dwordx2 v[10:11], v29, s[0:1]
	s_add_i32 s15, s14, -8
.LBB6_2948:                             ;   in Loop: Header=BB6_2932 Depth=1
	s_add_u32 s0, s10, 8
	s_addc_u32 s1, s11, 0
	s_cmp_gt_u32 s15, 7
	s_cbranch_scc1 .LBB6_2952
; %bb.2949:                             ;   in Loop: Header=BB6_2932 Depth=1
	s_cmp_eq_u32 s15, 0
	s_cbranch_scc1 .LBB6_2953
; %bb.2950:                             ;   in Loop: Header=BB6_2932 Depth=1
	s_mov_b64 s[0:1], 0
	v_mov_b64_e32 v[12:13], 0
	s_mov_b64 s[12:13], 0
.LBB6_2951:                             ;   Parent Loop BB6_2932 Depth=1
                                        ; =>  This Inner Loop Header: Depth=2
	s_add_u32 s16, s10, s12
	s_addc_u32 s17, s11, s13
	global_load_ubyte v2, v29, s[16:17]
	s_add_u32 s12, s12, 1
	s_addc_u32 s13, s13, 0
	s_waitcnt vmcnt(0)
	v_and_b32_e32 v28, 0xffff, v2
	v_lshlrev_b64 v[2:3], s0, v[28:29]
	s_add_u32 s0, s0, 8
	s_addc_u32 s1, s1, 0
	v_or_b32_e32 v12, v2, v12
	s_cmp_lg_u32 s15, s12
	v_or_b32_e32 v13, v3, v13
	s_cbranch_scc1 .LBB6_2951
	s_branch .LBB6_2954
.LBB6_2952:                             ;   in Loop: Header=BB6_2932 Depth=1
	s_mov_b32 s14, 0
	s_branch .LBB6_2955
.LBB6_2953:                             ;   in Loop: Header=BB6_2932 Depth=1
	v_mov_b64_e32 v[12:13], 0
.LBB6_2954:                             ;   in Loop: Header=BB6_2932 Depth=1
	s_mov_b64 s[0:1], s[10:11]
	s_mov_b32 s14, 0
	s_cbranch_execnz .LBB6_2956
.LBB6_2955:                             ;   in Loop: Header=BB6_2932 Depth=1
	global_load_dwordx2 v[12:13], v29, s[10:11]
	s_add_i32 s14, s15, -8
.LBB6_2956:                             ;   in Loop: Header=BB6_2932 Depth=1
	s_add_u32 s10, s0, 8
	s_addc_u32 s11, s1, 0
	s_cmp_gt_u32 s14, 7
	s_cbranch_scc1 .LBB6_2960
; %bb.2957:                             ;   in Loop: Header=BB6_2932 Depth=1
	s_cmp_eq_u32 s14, 0
	s_cbranch_scc1 .LBB6_2961
; %bb.2958:                             ;   in Loop: Header=BB6_2932 Depth=1
	s_mov_b64 s[10:11], 0
	v_mov_b64_e32 v[14:15], 0
	s_mov_b64 s[12:13], 0
.LBB6_2959:                             ;   Parent Loop BB6_2932 Depth=1
                                        ; =>  This Inner Loop Header: Depth=2
	s_add_u32 s16, s0, s12
	s_addc_u32 s17, s1, s13
	global_load_ubyte v2, v29, s[16:17]
	s_add_u32 s12, s12, 1
	s_addc_u32 s13, s13, 0
	s_waitcnt vmcnt(0)
	v_and_b32_e32 v28, 0xffff, v2
	v_lshlrev_b64 v[2:3], s10, v[28:29]
	s_add_u32 s10, s10, 8
	s_addc_u32 s11, s11, 0
	v_or_b32_e32 v14, v2, v14
	s_cmp_lg_u32 s14, s12
	v_or_b32_e32 v15, v3, v15
	s_cbranch_scc1 .LBB6_2959
	s_branch .LBB6_2962
.LBB6_2960:                             ;   in Loop: Header=BB6_2932 Depth=1
                                        ; implicit-def: $vgpr14_vgpr15
	s_mov_b32 s15, 0
	s_branch .LBB6_2963
.LBB6_2961:                             ;   in Loop: Header=BB6_2932 Depth=1
	v_mov_b64_e32 v[14:15], 0
.LBB6_2962:                             ;   in Loop: Header=BB6_2932 Depth=1
	s_mov_b64 s[10:11], s[0:1]
	s_mov_b32 s15, 0
	s_cbranch_execnz .LBB6_2964
.LBB6_2963:                             ;   in Loop: Header=BB6_2932 Depth=1
	global_load_dwordx2 v[14:15], v29, s[0:1]
	s_add_i32 s15, s14, -8
.LBB6_2964:                             ;   in Loop: Header=BB6_2932 Depth=1
	s_add_u32 s0, s10, 8
	s_addc_u32 s1, s11, 0
	s_cmp_gt_u32 s15, 7
	s_cbranch_scc1 .LBB6_2968
; %bb.2965:                             ;   in Loop: Header=BB6_2932 Depth=1
	s_cmp_eq_u32 s15, 0
	s_cbranch_scc1 .LBB6_2969
; %bb.2966:                             ;   in Loop: Header=BB6_2932 Depth=1
	s_mov_b64 s[0:1], 0
	v_mov_b64_e32 v[16:17], 0
	s_mov_b64 s[12:13], 0
.LBB6_2967:                             ;   Parent Loop BB6_2932 Depth=1
                                        ; =>  This Inner Loop Header: Depth=2
	s_add_u32 s16, s10, s12
	s_addc_u32 s17, s11, s13
	global_load_ubyte v2, v29, s[16:17]
	s_add_u32 s12, s12, 1
	s_addc_u32 s13, s13, 0
	s_waitcnt vmcnt(0)
	v_and_b32_e32 v28, 0xffff, v2
	v_lshlrev_b64 v[2:3], s0, v[28:29]
	s_add_u32 s0, s0, 8
	s_addc_u32 s1, s1, 0
	v_or_b32_e32 v16, v2, v16
	s_cmp_lg_u32 s15, s12
	v_or_b32_e32 v17, v3, v17
	s_cbranch_scc1 .LBB6_2967
	s_branch .LBB6_2970
.LBB6_2968:                             ;   in Loop: Header=BB6_2932 Depth=1
	s_mov_b32 s14, 0
	s_branch .LBB6_2971
.LBB6_2969:                             ;   in Loop: Header=BB6_2932 Depth=1
	v_mov_b64_e32 v[16:17], 0
.LBB6_2970:                             ;   in Loop: Header=BB6_2932 Depth=1
	s_mov_b64 s[0:1], s[10:11]
	s_mov_b32 s14, 0
	s_cbranch_execnz .LBB6_2972
.LBB6_2971:                             ;   in Loop: Header=BB6_2932 Depth=1
	global_load_dwordx2 v[16:17], v29, s[10:11]
	s_add_i32 s14, s15, -8
.LBB6_2972:                             ;   in Loop: Header=BB6_2932 Depth=1
	s_add_u32 s10, s0, 8
	s_addc_u32 s11, s1, 0
	s_cmp_gt_u32 s14, 7
	s_cbranch_scc1 .LBB6_2976
; %bb.2973:                             ;   in Loop: Header=BB6_2932 Depth=1
	s_cmp_eq_u32 s14, 0
	s_cbranch_scc1 .LBB6_2977
; %bb.2974:                             ;   in Loop: Header=BB6_2932 Depth=1
	s_mov_b64 s[10:11], 0
	v_mov_b64_e32 v[18:19], 0
	s_mov_b64 s[12:13], 0
.LBB6_2975:                             ;   Parent Loop BB6_2932 Depth=1
                                        ; =>  This Inner Loop Header: Depth=2
	s_add_u32 s16, s0, s12
	s_addc_u32 s17, s1, s13
	global_load_ubyte v2, v29, s[16:17]
	s_add_u32 s12, s12, 1
	s_addc_u32 s13, s13, 0
	s_waitcnt vmcnt(0)
	v_and_b32_e32 v28, 0xffff, v2
	v_lshlrev_b64 v[2:3], s10, v[28:29]
	s_add_u32 s10, s10, 8
	s_addc_u32 s11, s11, 0
	v_or_b32_e32 v18, v2, v18
	s_cmp_lg_u32 s14, s12
	v_or_b32_e32 v19, v3, v19
	s_cbranch_scc1 .LBB6_2975
	s_branch .LBB6_2978
.LBB6_2976:                             ;   in Loop: Header=BB6_2932 Depth=1
                                        ; implicit-def: $vgpr18_vgpr19
	s_mov_b32 s15, 0
	s_branch .LBB6_2979
.LBB6_2977:                             ;   in Loop: Header=BB6_2932 Depth=1
	v_mov_b64_e32 v[18:19], 0
.LBB6_2978:                             ;   in Loop: Header=BB6_2932 Depth=1
	s_mov_b64 s[10:11], s[0:1]
	s_mov_b32 s15, 0
	s_cbranch_execnz .LBB6_2980
.LBB6_2979:                             ;   in Loop: Header=BB6_2932 Depth=1
	global_load_dwordx2 v[18:19], v29, s[0:1]
	s_add_i32 s15, s14, -8
.LBB6_2980:                             ;   in Loop: Header=BB6_2932 Depth=1
	s_cmp_gt_u32 s15, 7
	s_cbranch_scc1 .LBB6_2984
; %bb.2981:                             ;   in Loop: Header=BB6_2932 Depth=1
	s_cmp_eq_u32 s15, 0
	s_cbranch_scc1 .LBB6_2985
; %bb.2982:                             ;   in Loop: Header=BB6_2932 Depth=1
	s_mov_b64 s[0:1], 0
	v_mov_b64_e32 v[20:21], 0
	s_mov_b64 s[12:13], s[10:11]
.LBB6_2983:                             ;   Parent Loop BB6_2932 Depth=1
                                        ; =>  This Inner Loop Header: Depth=2
	global_load_ubyte v2, v29, s[12:13]
	s_add_i32 s15, s15, -1
	s_waitcnt vmcnt(0)
	v_and_b32_e32 v28, 0xffff, v2
	v_lshlrev_b64 v[2:3], s0, v[28:29]
	s_add_u32 s0, s0, 8
	s_addc_u32 s1, s1, 0
	s_add_u32 s12, s12, 1
	s_addc_u32 s13, s13, 0
	v_or_b32_e32 v20, v2, v20
	s_cmp_lg_u32 s15, 0
	v_or_b32_e32 v21, v3, v21
	s_cbranch_scc1 .LBB6_2983
	s_branch .LBB6_2986
.LBB6_2984:                             ;   in Loop: Header=BB6_2932 Depth=1
	s_branch .LBB6_2987
.LBB6_2985:                             ;   in Loop: Header=BB6_2932 Depth=1
	v_mov_b64_e32 v[20:21], 0
.LBB6_2986:                             ;   in Loop: Header=BB6_2932 Depth=1
	s_cbranch_execnz .LBB6_2988
.LBB6_2987:                             ;   in Loop: Header=BB6_2932 Depth=1
	global_load_dwordx2 v[20:21], v29, s[10:11]
.LBB6_2988:                             ;   in Loop: Header=BB6_2932 Depth=1
	v_readfirstlane_b32 s0, v32
	v_mov_b64_e32 v[2:3], 0
	s_nop 0
	v_cmp_eq_u32_e64 s[0:1], s0, v32
	s_and_saveexec_b64 s[10:11], s[0:1]
	s_cbranch_execz .LBB6_2994
; %bb.2989:                             ;   in Loop: Header=BB6_2932 Depth=1
	global_load_dwordx2 v[24:25], v29, s[2:3] offset:24 sc0 sc1
	s_waitcnt vmcnt(0)
	buffer_inv sc0 sc1
	global_load_dwordx2 v[2:3], v29, s[2:3] offset:40
	global_load_dwordx2 v[22:23], v29, s[2:3]
	s_waitcnt vmcnt(1)
	v_and_b32_e32 v2, v2, v24
	v_and_b32_e32 v3, v3, v25
	v_mul_lo_u32 v3, v3, 24
	v_mul_hi_u32 v27, v2, 24
	v_add_u32_e32 v3, v27, v3
	v_mul_lo_u32 v2, v2, 24
	s_waitcnt vmcnt(0)
	v_lshl_add_u64 v[2:3], v[22:23], 0, v[2:3]
	global_load_dwordx2 v[22:23], v[2:3], off sc0 sc1
	s_waitcnt vmcnt(0)
	global_atomic_cmpswap_x2 v[2:3], v29, v[22:25], s[2:3] offset:24 sc0 sc1
	s_waitcnt vmcnt(0)
	buffer_inv sc0 sc1
	v_cmp_ne_u64_e32 vcc, v[2:3], v[24:25]
	s_and_saveexec_b64 s[12:13], vcc
	s_cbranch_execz .LBB6_2993
; %bb.2990:                             ;   in Loop: Header=BB6_2932 Depth=1
	s_mov_b64 s[14:15], 0
.LBB6_2991:                             ;   Parent Loop BB6_2932 Depth=1
                                        ; =>  This Inner Loop Header: Depth=2
	s_sleep 1
	global_load_dwordx2 v[22:23], v29, s[2:3] offset:40
	global_load_dwordx2 v[30:31], v29, s[2:3]
	v_mov_b64_e32 v[24:25], v[2:3]
	s_waitcnt vmcnt(1)
	v_and_b32_e32 v2, v22, v24
	s_waitcnt vmcnt(0)
	v_mad_u64_u32 v[2:3], s[16:17], v2, 24, v[30:31]
	v_and_b32_e32 v23, v23, v25
	v_mov_b32_e32 v22, v3
	v_mad_u64_u32 v[22:23], s[16:17], v23, 24, v[22:23]
	v_mov_b32_e32 v3, v22
	global_load_dwordx2 v[22:23], v[2:3], off sc0 sc1
	s_waitcnt vmcnt(0)
	global_atomic_cmpswap_x2 v[2:3], v29, v[22:25], s[2:3] offset:24 sc0 sc1
	s_waitcnt vmcnt(0)
	buffer_inv sc0 sc1
	v_cmp_eq_u64_e32 vcc, v[2:3], v[24:25]
	s_or_b64 s[14:15], vcc, s[14:15]
	s_andn2_b64 exec, exec, s[14:15]
	s_cbranch_execnz .LBB6_2991
; %bb.2992:                             ;   in Loop: Header=BB6_2932 Depth=1
	s_or_b64 exec, exec, s[14:15]
.LBB6_2993:                             ;   in Loop: Header=BB6_2932 Depth=1
	s_or_b64 exec, exec, s[12:13]
.LBB6_2994:                             ;   in Loop: Header=BB6_2932 Depth=1
	s_or_b64 exec, exec, s[10:11]
	global_load_dwordx2 v[30:31], v29, s[2:3] offset:40
	global_load_dwordx4 v[22:25], v29, s[2:3]
	v_readfirstlane_b32 s11, v3
	v_readfirstlane_b32 s10, v2
	s_mov_b64 s[12:13], exec
	s_waitcnt vmcnt(1)
	v_readfirstlane_b32 s14, v30
	v_readfirstlane_b32 s15, v31
	s_and_b64 s[14:15], s[14:15], s[10:11]
	s_mul_i32 s16, s15, 24
	s_mul_hi_u32 s17, s14, 24
	s_add_i32 s17, s17, s16
	s_mul_i32 s16, s14, 24
	s_waitcnt vmcnt(0)
	v_lshl_add_u64 v[30:31], v[22:23], 0, s[16:17]
	s_and_saveexec_b64 s[16:17], s[0:1]
	s_cbranch_execz .LBB6_2996
; %bb.2995:                             ;   in Loop: Header=BB6_2932 Depth=1
	v_mov_b64_e32 v[2:3], s[12:13]
	global_store_dwordx4 v[30:31], v[2:5], off offset:8
.LBB6_2996:                             ;   in Loop: Header=BB6_2932 Depth=1
	s_or_b64 exec, exec, s[16:17]
	s_lshl_b64 s[12:13], s[14:15], 12
	v_lshl_add_u64 v[2:3], v[24:25], 0, s[12:13]
	v_cmp_gt_u64_e64 s[12:13], s[6:7], 56
	s_and_b64 s[12:13], s[12:13], exec
	s_cselect_b32 s12, 0, 2
	s_lshl_b32 s13, s8, 2
	s_add_i32 s13, s13, 28
	v_and_b32_e32 v6, 0xffffff1f, v6
	s_and_b32 s13, s13, 0x1e0
	v_or_b32_e32 v6, s12, v6
	v_or_b32_e32 v6, s13, v6
	v_readfirstlane_b32 s12, v2
	v_readfirstlane_b32 s13, v3
	s_nop 4
	global_store_dwordx4 v26, v[6:9], s[12:13]
	global_store_dwordx4 v26, v[10:13], s[12:13] offset:16
	global_store_dwordx4 v26, v[14:17], s[12:13] offset:32
	;; [unrolled: 1-line block ×3, first 2 shown]
	s_and_saveexec_b64 s[12:13], s[0:1]
	s_cbranch_execz .LBB6_3004
; %bb.2997:                             ;   in Loop: Header=BB6_2932 Depth=1
	global_load_dwordx2 v[14:15], v29, s[2:3] offset:32 sc0 sc1
	global_load_dwordx2 v[6:7], v29, s[2:3] offset:40
	v_mov_b32_e32 v12, s10
	v_mov_b32_e32 v13, s11
	s_waitcnt vmcnt(0)
	v_readfirstlane_b32 s14, v6
	v_readfirstlane_b32 s15, v7
	s_and_b64 s[14:15], s[14:15], s[10:11]
	s_mul_i32 s15, s15, 24
	s_mul_hi_u32 s16, s14, 24
	s_mul_i32 s14, s14, 24
	s_add_i32 s15, s16, s15
	v_lshl_add_u64 v[10:11], v[22:23], 0, s[14:15]
	global_store_dwordx2 v[10:11], v[14:15], off
	buffer_wbl2 sc0 sc1
	s_waitcnt vmcnt(0)
	global_atomic_cmpswap_x2 v[8:9], v29, v[12:15], s[2:3] offset:32 sc0 sc1
	s_waitcnt vmcnt(0)
	v_cmp_ne_u64_e32 vcc, v[8:9], v[14:15]
	s_and_saveexec_b64 s[14:15], vcc
	s_cbranch_execz .LBB6_3000
; %bb.2998:                             ;   in Loop: Header=BB6_2932 Depth=1
	s_mov_b64 s[16:17], 0
.LBB6_2999:                             ;   Parent Loop BB6_2932 Depth=1
                                        ; =>  This Inner Loop Header: Depth=2
	s_sleep 1
	global_store_dwordx2 v[10:11], v[8:9], off
	v_mov_b32_e32 v6, s10
	v_mov_b32_e32 v7, s11
	buffer_wbl2 sc0 sc1
	s_waitcnt vmcnt(0)
	global_atomic_cmpswap_x2 v[6:7], v29, v[6:9], s[2:3] offset:32 sc0 sc1
	s_waitcnt vmcnt(0)
	v_cmp_eq_u64_e32 vcc, v[6:7], v[8:9]
	s_or_b64 s[16:17], vcc, s[16:17]
	v_mov_b64_e32 v[8:9], v[6:7]
	s_andn2_b64 exec, exec, s[16:17]
	s_cbranch_execnz .LBB6_2999
.LBB6_3000:                             ;   in Loop: Header=BB6_2932 Depth=1
	s_or_b64 exec, exec, s[14:15]
	global_load_dwordx2 v[6:7], v29, s[2:3] offset:16
	s_mov_b64 s[16:17], exec
	v_mbcnt_lo_u32_b32 v8, s16, 0
	v_mbcnt_hi_u32_b32 v8, s17, v8
	v_cmp_eq_u32_e32 vcc, 0, v8
	s_and_saveexec_b64 s[14:15], vcc
	s_cbranch_execz .LBB6_3002
; %bb.3001:                             ;   in Loop: Header=BB6_2932 Depth=1
	s_bcnt1_i32_b64 s16, s[16:17]
	v_mov_b32_e32 v28, s16
	buffer_wbl2 sc0 sc1
	s_waitcnt vmcnt(0)
	global_atomic_add_x2 v[6:7], v[28:29], off offset:8 sc1
.LBB6_3002:                             ;   in Loop: Header=BB6_2932 Depth=1
	s_or_b64 exec, exec, s[14:15]
	s_waitcnt vmcnt(0)
	global_load_dwordx2 v[8:9], v[6:7], off offset:16
	s_waitcnt vmcnt(0)
	v_cmp_eq_u64_e32 vcc, 0, v[8:9]
	s_cbranch_vccnz .LBB6_3004
; %bb.3003:                             ;   in Loop: Header=BB6_2932 Depth=1
	global_load_dword v28, v[6:7], off offset:24
	s_waitcnt vmcnt(0)
	v_readfirstlane_b32 s14, v28
	s_and_b32 m0, s14, 0xffffff
	buffer_wbl2 sc0 sc1
	global_store_dwordx2 v[8:9], v[28:29], off sc0 sc1
	s_sendmsg sendmsg(MSG_INTERRUPT)
.LBB6_3004:                             ;   in Loop: Header=BB6_2932 Depth=1
	s_or_b64 exec, exec, s[12:13]
	v_mov_b32_e32 v27, v29
	v_lshl_add_u64 v[2:3], v[2:3], 0, v[26:27]
	s_branch .LBB6_3008
.LBB6_3005:                             ;   in Loop: Header=BB6_3008 Depth=2
	s_or_b64 exec, exec, s[12:13]
	v_readfirstlane_b32 s12, v6
	s_cmp_eq_u32 s12, 0
	s_cbranch_scc1 .LBB6_3007
; %bb.3006:                             ;   in Loop: Header=BB6_3008 Depth=2
	s_sleep 1
	s_cbranch_execnz .LBB6_3008
	s_branch .LBB6_3010
.LBB6_3007:                             ;   in Loop: Header=BB6_2932 Depth=1
	s_branch .LBB6_3010
.LBB6_3008:                             ;   Parent Loop BB6_2932 Depth=1
                                        ; =>  This Inner Loop Header: Depth=2
	v_mov_b32_e32 v6, 1
	s_and_saveexec_b64 s[12:13], s[0:1]
	s_cbranch_execz .LBB6_3005
; %bb.3009:                             ;   in Loop: Header=BB6_3008 Depth=2
	global_load_dword v6, v[30:31], off offset:20 sc0 sc1
	s_waitcnt vmcnt(0)
	buffer_inv sc0 sc1
	v_and_b32_e32 v6, 1, v6
	s_branch .LBB6_3005
.LBB6_3010:                             ;   in Loop: Header=BB6_2932 Depth=1
	global_load_dwordx4 v[6:9], v[2:3], off
	s_and_saveexec_b64 s[12:13], s[0:1]
	s_cbranch_execz .LBB6_2931
; %bb.3011:                             ;   in Loop: Header=BB6_2932 Depth=1
	global_load_dwordx2 v[2:3], v29, s[2:3] offset:40
	global_load_dwordx2 v[12:13], v29, s[2:3] offset:24 sc0 sc1
	global_load_dwordx2 v[8:9], v29, s[2:3]
	s_waitcnt vmcnt(2)
	v_readfirstlane_b32 s14, v2
	v_readfirstlane_b32 s15, v3
	s_add_u32 s16, s14, 1
	s_addc_u32 s17, s15, 0
	s_add_u32 s0, s16, s10
	s_addc_u32 s1, s17, s11
	s_cmp_eq_u64 s[0:1], 0
	s_cselect_b32 s1, s17, s1
	s_cselect_b32 s0, s16, s0
	s_and_b64 s[10:11], s[0:1], s[14:15]
	s_mul_i32 s11, s11, 24
	s_mul_hi_u32 s14, s10, 24
	s_mul_i32 s10, s10, 24
	s_add_i32 s11, s14, s11
	s_waitcnt vmcnt(0)
	v_lshl_add_u64 v[2:3], v[8:9], 0, s[10:11]
	v_mov_b32_e32 v10, s0
	global_store_dwordx2 v[2:3], v[12:13], off
	v_mov_b32_e32 v11, s1
	buffer_wbl2 sc0 sc1
	s_waitcnt vmcnt(0)
	global_atomic_cmpswap_x2 v[10:11], v29, v[10:13], s[2:3] offset:24 sc0 sc1
	s_waitcnt vmcnt(0)
	v_cmp_ne_u64_e32 vcc, v[10:11], v[12:13]
	s_and_b64 exec, exec, vcc
	s_cbranch_execz .LBB6_2931
; %bb.3012:                             ;   in Loop: Header=BB6_2932 Depth=1
	s_mov_b64 s[10:11], 0
.LBB6_3013:                             ;   Parent Loop BB6_2932 Depth=1
                                        ; =>  This Inner Loop Header: Depth=2
	s_sleep 1
	global_store_dwordx2 v[2:3], v[10:11], off
	v_mov_b32_e32 v8, s0
	v_mov_b32_e32 v9, s1
	buffer_wbl2 sc0 sc1
	s_waitcnt vmcnt(0)
	global_atomic_cmpswap_x2 v[8:9], v29, v[8:11], s[2:3] offset:24 sc0 sc1
	s_waitcnt vmcnt(0)
	v_cmp_eq_u64_e32 vcc, v[8:9], v[10:11]
	s_or_b64 s[10:11], vcc, s[10:11]
	v_mov_b64_e32 v[10:11], v[8:9]
	s_andn2_b64 exec, exec, s[10:11]
	s_cbranch_execnz .LBB6_3013
	s_branch .LBB6_2931
.LBB6_3014:
	s_branch .LBB6_3042
.LBB6_3015:
	s_cbranch_execz .LBB6_3042
; %bb.3016:
	v_readfirstlane_b32 s0, v32
	s_waitcnt vmcnt(0)
	v_mov_b64_e32 v[8:9], 0
	v_cmp_eq_u32_e64 s[0:1], s0, v32
	s_and_saveexec_b64 s[4:5], s[0:1]
	s_cbranch_execz .LBB6_3022
; %bb.3017:
	v_mov_b32_e32 v2, 0
	global_load_dwordx2 v[6:7], v2, s[2:3] offset:24 sc0 sc1
	s_waitcnt vmcnt(0)
	buffer_inv sc0 sc1
	global_load_dwordx2 v[4:5], v2, s[2:3] offset:40
	global_load_dwordx2 v[8:9], v2, s[2:3]
	s_waitcnt vmcnt(1)
	v_and_b32_e32 v3, v4, v6
	v_and_b32_e32 v4, v5, v7
	v_mul_lo_u32 v4, v4, 24
	v_mul_hi_u32 v5, v3, 24
	v_add_u32_e32 v5, v5, v4
	v_mul_lo_u32 v4, v3, 24
	s_waitcnt vmcnt(0)
	v_lshl_add_u64 v[4:5], v[8:9], 0, v[4:5]
	global_load_dwordx2 v[4:5], v[4:5], off sc0 sc1
	s_waitcnt vmcnt(0)
	global_atomic_cmpswap_x2 v[8:9], v2, v[4:7], s[2:3] offset:24 sc0 sc1
	s_waitcnt vmcnt(0)
	buffer_inv sc0 sc1
	v_cmp_ne_u64_e32 vcc, v[8:9], v[6:7]
	s_and_saveexec_b64 s[6:7], vcc
	s_cbranch_execz .LBB6_3021
; %bb.3018:
	s_mov_b64 s[8:9], 0
.LBB6_3019:                             ; =>This Inner Loop Header: Depth=1
	s_sleep 1
	global_load_dwordx2 v[4:5], v2, s[2:3] offset:40
	global_load_dwordx2 v[10:11], v2, s[2:3]
	v_mov_b64_e32 v[6:7], v[8:9]
	s_waitcnt vmcnt(1)
	v_and_b32_e32 v4, v4, v6
	v_and_b32_e32 v3, v5, v7
	s_waitcnt vmcnt(0)
	v_mad_u64_u32 v[4:5], s[10:11], v4, 24, v[10:11]
	v_mov_b32_e32 v8, v5
	v_mad_u64_u32 v[8:9], s[10:11], v3, 24, v[8:9]
	v_mov_b32_e32 v5, v8
	global_load_dwordx2 v[4:5], v[4:5], off sc0 sc1
	s_waitcnt vmcnt(0)
	global_atomic_cmpswap_x2 v[8:9], v2, v[4:7], s[2:3] offset:24 sc0 sc1
	s_waitcnt vmcnt(0)
	buffer_inv sc0 sc1
	v_cmp_eq_u64_e32 vcc, v[8:9], v[6:7]
	s_or_b64 s[8:9], vcc, s[8:9]
	s_andn2_b64 exec, exec, s[8:9]
	s_cbranch_execnz .LBB6_3019
; %bb.3020:
	s_or_b64 exec, exec, s[8:9]
.LBB6_3021:
	s_or_b64 exec, exec, s[6:7]
.LBB6_3022:
	s_or_b64 exec, exec, s[4:5]
	v_mov_b32_e32 v2, 0
	global_load_dwordx2 v[10:11], v2, s[2:3] offset:40
	global_load_dwordx4 v[4:7], v2, s[2:3]
	v_readfirstlane_b32 s5, v9
	v_readfirstlane_b32 s4, v8
	s_mov_b64 s[6:7], exec
	s_waitcnt vmcnt(1)
	v_readfirstlane_b32 s8, v10
	v_readfirstlane_b32 s9, v11
	s_and_b64 s[8:9], s[8:9], s[4:5]
	s_mul_i32 s10, s9, 24
	s_mul_hi_u32 s11, s8, 24
	s_add_i32 s11, s11, s10
	s_mul_i32 s10, s8, 24
	s_waitcnt vmcnt(0)
	v_lshl_add_u64 v[8:9], v[4:5], 0, s[10:11]
	s_and_saveexec_b64 s[10:11], s[0:1]
	s_cbranch_execz .LBB6_3024
; %bb.3023:
	v_mov_b64_e32 v[10:11], s[6:7]
	v_mov_b32_e32 v12, 2
	v_mov_b32_e32 v13, 1
	global_store_dwordx4 v[8:9], v[10:13], off offset:8
.LBB6_3024:
	s_or_b64 exec, exec, s[10:11]
	s_lshl_b64 s[6:7], s[8:9], 12
	v_lshl_add_u64 v[6:7], v[6:7], 0, s[6:7]
	s_movk_i32 s6, 0xff1d
	s_mov_b32 s8, 0
	v_and_or_b32 v0, v0, s6, 34
	v_mov_b32_e32 v3, v2
	v_readfirstlane_b32 s6, v6
	v_readfirstlane_b32 s7, v7
	s_mov_b32 s9, s8
	s_mov_b32 s10, s8
	;; [unrolled: 1-line block ×3, first 2 shown]
	s_nop 1
	global_store_dwordx4 v26, v[0:3], s[6:7]
	s_nop 1
	v_mov_b64_e32 v[0:1], s[8:9]
	v_mov_b64_e32 v[2:3], s[10:11]
	global_store_dwordx4 v26, v[0:3], s[6:7] offset:16
	global_store_dwordx4 v26, v[0:3], s[6:7] offset:32
	;; [unrolled: 1-line block ×3, first 2 shown]
	s_and_saveexec_b64 s[6:7], s[0:1]
	s_cbranch_execz .LBB6_3032
; %bb.3025:
	v_mov_b32_e32 v6, 0
	global_load_dwordx2 v[12:13], v6, s[2:3] offset:32 sc0 sc1
	global_load_dwordx2 v[0:1], v6, s[2:3] offset:40
	v_mov_b32_e32 v10, s4
	v_mov_b32_e32 v11, s5
	s_waitcnt vmcnt(0)
	v_readfirstlane_b32 s8, v0
	v_readfirstlane_b32 s9, v1
	s_and_b64 s[8:9], s[8:9], s[4:5]
	s_mul_i32 s9, s9, 24
	s_mul_hi_u32 s10, s8, 24
	s_mul_i32 s8, s8, 24
	s_add_i32 s9, s10, s9
	v_lshl_add_u64 v[4:5], v[4:5], 0, s[8:9]
	global_store_dwordx2 v[4:5], v[12:13], off
	buffer_wbl2 sc0 sc1
	s_waitcnt vmcnt(0)
	global_atomic_cmpswap_x2 v[2:3], v6, v[10:13], s[2:3] offset:32 sc0 sc1
	s_waitcnt vmcnt(0)
	v_cmp_ne_u64_e32 vcc, v[2:3], v[12:13]
	s_and_saveexec_b64 s[8:9], vcc
	s_cbranch_execz .LBB6_3028
; %bb.3026:
	s_mov_b64 s[10:11], 0
.LBB6_3027:                             ; =>This Inner Loop Header: Depth=1
	s_sleep 1
	global_store_dwordx2 v[4:5], v[2:3], off
	v_mov_b32_e32 v0, s4
	v_mov_b32_e32 v1, s5
	buffer_wbl2 sc0 sc1
	s_waitcnt vmcnt(0)
	global_atomic_cmpswap_x2 v[0:1], v6, v[0:3], s[2:3] offset:32 sc0 sc1
	s_waitcnt vmcnt(0)
	v_cmp_eq_u64_e32 vcc, v[0:1], v[2:3]
	s_or_b64 s[10:11], vcc, s[10:11]
	v_mov_b64_e32 v[2:3], v[0:1]
	s_andn2_b64 exec, exec, s[10:11]
	s_cbranch_execnz .LBB6_3027
.LBB6_3028:
	s_or_b64 exec, exec, s[8:9]
	v_mov_b32_e32 v3, 0
	global_load_dwordx2 v[0:1], v3, s[2:3] offset:16
	s_mov_b64 s[8:9], exec
	v_mbcnt_lo_u32_b32 v2, s8, 0
	v_mbcnt_hi_u32_b32 v2, s9, v2
	v_cmp_eq_u32_e32 vcc, 0, v2
	s_and_saveexec_b64 s[10:11], vcc
	s_cbranch_execz .LBB6_3030
; %bb.3029:
	s_bcnt1_i32_b64 s8, s[8:9]
	v_mov_b32_e32 v2, s8
	buffer_wbl2 sc0 sc1
	s_waitcnt vmcnt(0)
	global_atomic_add_x2 v[0:1], v[2:3], off offset:8 sc1
.LBB6_3030:
	s_or_b64 exec, exec, s[10:11]
	s_waitcnt vmcnt(0)
	global_load_dwordx2 v[2:3], v[0:1], off offset:16
	s_waitcnt vmcnt(0)
	v_cmp_eq_u64_e32 vcc, 0, v[2:3]
	s_cbranch_vccnz .LBB6_3032
; %bb.3031:
	global_load_dword v0, v[0:1], off offset:24
	v_mov_b32_e32 v1, 0
	s_waitcnt vmcnt(0)
	v_readfirstlane_b32 s8, v0
	s_and_b32 m0, s8, 0xffffff
	buffer_wbl2 sc0 sc1
	global_store_dwordx2 v[2:3], v[0:1], off sc0 sc1
	s_sendmsg sendmsg(MSG_INTERRUPT)
.LBB6_3032:
	s_or_b64 exec, exec, s[6:7]
	s_branch .LBB6_3036
.LBB6_3033:                             ;   in Loop: Header=BB6_3036 Depth=1
	s_or_b64 exec, exec, s[6:7]
	v_readfirstlane_b32 s6, v0
	s_cmp_eq_u32 s6, 0
	s_cbranch_scc1 .LBB6_3035
; %bb.3034:                             ;   in Loop: Header=BB6_3036 Depth=1
	s_sleep 1
	s_cbranch_execnz .LBB6_3036
	s_branch .LBB6_3038
.LBB6_3035:
	s_branch .LBB6_3038
.LBB6_3036:                             ; =>This Inner Loop Header: Depth=1
	v_mov_b32_e32 v0, 1
	s_and_saveexec_b64 s[6:7], s[0:1]
	s_cbranch_execz .LBB6_3033
; %bb.3037:                             ;   in Loop: Header=BB6_3036 Depth=1
	global_load_dword v0, v[8:9], off offset:20 sc0 sc1
	s_waitcnt vmcnt(0)
	buffer_inv sc0 sc1
	v_and_b32_e32 v0, 1, v0
	s_branch .LBB6_3033
.LBB6_3038:
	s_and_saveexec_b64 s[6:7], s[0:1]
	s_cbranch_execz .LBB6_3041
; %bb.3039:
	v_mov_b32_e32 v6, 0
	global_load_dwordx2 v[0:1], v6, s[2:3] offset:40
	global_load_dwordx2 v[10:11], v6, s[2:3] offset:24 sc0 sc1
	global_load_dwordx2 v[2:3], v6, s[2:3]
	s_waitcnt vmcnt(2)
	v_readfirstlane_b32 s8, v0
	v_readfirstlane_b32 s9, v1
	s_add_u32 s10, s8, 1
	s_addc_u32 s11, s9, 0
	s_add_u32 s0, s10, s4
	s_addc_u32 s1, s11, s5
	s_cmp_eq_u64 s[0:1], 0
	s_cselect_b32 s1, s11, s1
	s_cselect_b32 s0, s10, s0
	s_and_b64 s[4:5], s[0:1], s[8:9]
	s_mul_i32 s5, s5, 24
	s_mul_hi_u32 s8, s4, 24
	s_mul_i32 s4, s4, 24
	s_add_i32 s5, s8, s5
	s_waitcnt vmcnt(0)
	v_lshl_add_u64 v[4:5], v[2:3], 0, s[4:5]
	v_mov_b32_e32 v8, s0
	global_store_dwordx2 v[4:5], v[10:11], off
	v_mov_b32_e32 v9, s1
	buffer_wbl2 sc0 sc1
	s_waitcnt vmcnt(0)
	global_atomic_cmpswap_x2 v[2:3], v6, v[8:11], s[2:3] offset:24 sc0 sc1
	s_mov_b64 s[4:5], 0
	s_waitcnt vmcnt(0)
	v_cmp_ne_u64_e32 vcc, v[2:3], v[10:11]
	s_and_b64 exec, exec, vcc
	s_cbranch_execz .LBB6_3041
.LBB6_3040:                             ; =>This Inner Loop Header: Depth=1
	s_sleep 1
	global_store_dwordx2 v[4:5], v[2:3], off
	v_mov_b32_e32 v0, s0
	v_mov_b32_e32 v1, s1
	buffer_wbl2 sc0 sc1
	s_waitcnt vmcnt(0)
	global_atomic_cmpswap_x2 v[0:1], v6, v[0:3], s[2:3] offset:24 sc0 sc1
	s_waitcnt vmcnt(0)
	v_cmp_eq_u64_e32 vcc, v[0:1], v[2:3]
	s_or_b64 s[4:5], vcc, s[4:5]
	v_mov_b64_e32 v[2:3], v[0:1]
	s_andn2_b64 exec, exec, s[4:5]
	s_cbranch_execnz .LBB6_3040
.LBB6_3041:
	s_or_b64 exec, exec, s[6:7]
.LBB6_3042:
	s_getpc_b64 s[0:1]
	s_add_u32 s0, s0, .str.29@rel32@lo+4
	s_addc_u32 s1, s1, .str.29@rel32@hi+12
	s_getpc_b64 s[2:3]
	s_add_u32 s2, s2, .str.19@rel32@lo+4
	s_addc_u32 s3, s3, .str.19@rel32@hi+12
	s_getpc_b64 s[4:5]
	s_add_u32 s4, s4, __PRETTY_FUNCTION__._ZN7VecsMemIjLi8192EE5fetchEi@rel32@lo+4
	s_addc_u32 s5, s5, __PRETTY_FUNCTION__._ZN7VecsMemIjLi8192EE5fetchEi@rel32@hi+12
	s_getpc_b64 s[6:7]
	s_add_u32 s6, s6, __assert_fail@rel32@lo+4
	s_addc_u32 s7, s7, __assert_fail@rel32@hi+12
	s_mov_b64 s[8:9], s[64:65]
	s_waitcnt vmcnt(0)
	v_mov_b32_e32 v0, s0
	v_mov_b32_e32 v1, s1
	;; [unrolled: 1-line block ×7, first 2 shown]
	s_swappc_b64 s[30:31], s[6:7]
	s_or_b64 s[70:71], s[70:71], exec
.LBB6_3043:
	s_or_b64 exec, exec, s[22:23]
	s_andn2_b64 s[0:1], s[66:67], exec
	s_and_b64 s[2:3], s[70:71], exec
	s_or_b64 s[66:67], s[0:1], s[2:3]
	s_or_b64 exec, exec, s[68:69]
	s_and_saveexec_b64 s[0:1], s[66:67]
	s_cbranch_execnz .LBB6_3
	s_branch .LBB6_4
.Lfunc_end6:
	.size	_ZN3sop12sopFactorRecEPNS_3SopEiP7VecsMemIjLi8192EEPN8subgUtil4SubgILi256EEE, .Lfunc_end6-_ZN3sop12sopFactorRecEPNS_3SopEiP7VecsMemIjLi8192EEPN8subgUtil4SubgILi256EEE
                                        ; -- End function
	.set .L_ZN3sop12sopFactorRecEPNS_3SopEiP7VecsMemIjLi8192EEPN8subgUtil4SubgILi256EEE.num_vgpr, max(83, .L__assert_fail.num_vgpr, .L_ZN3sop23sopFactorTrivialCubeRecEjiiPN8subgUtil4SubgILi256EEE.num_vgpr, .L_ZN3sop19sopFactorTrivialRecEPjiiPN8subgUtil4SubgILi256EEE.num_vgpr)
	.set .L_ZN3sop12sopFactorRecEPNS_3SopEiP7VecsMemIjLi8192EEPN8subgUtil4SubgILi256EEE.num_agpr, max(0, .L__assert_fail.num_agpr, .L_ZN3sop23sopFactorTrivialCubeRecEjiiPN8subgUtil4SubgILi256EEE.num_agpr, .L_ZN3sop19sopFactorTrivialRecEPjiiPN8subgUtil4SubgILi256EEE.num_agpr)
	.set .L_ZN3sop12sopFactorRecEPNS_3SopEiP7VecsMemIjLi8192EEPN8subgUtil4SubgILi256EEE.numbered_sgpr, max(98, .L__assert_fail.numbered_sgpr, .L_ZN3sop23sopFactorTrivialCubeRecEjiiPN8subgUtil4SubgILi256EEE.numbered_sgpr, .L_ZN3sop19sopFactorTrivialRecEPjiiPN8subgUtil4SubgILi256EEE.numbered_sgpr)
	.set .L_ZN3sop12sopFactorRecEPNS_3SopEiP7VecsMemIjLi8192EEPN8subgUtil4SubgILi256EEE.num_named_barrier, max(0, .L__assert_fail.num_named_barrier, .L_ZN3sop23sopFactorTrivialCubeRecEjiiPN8subgUtil4SubgILi256EEE.num_named_barrier, .L_ZN3sop19sopFactorTrivialRecEPjiiPN8subgUtil4SubgILi256EEE.num_named_barrier)
	.set .L_ZN3sop12sopFactorRecEPNS_3SopEiP7VecsMemIjLi8192EEPN8subgUtil4SubgILi256EEE.private_seg_size, 176+max(.L__assert_fail.private_seg_size, .L_ZN3sop23sopFactorTrivialCubeRecEjiiPN8subgUtil4SubgILi256EEE.private_seg_size, .L_ZN3sop19sopFactorTrivialRecEPjiiPN8subgUtil4SubgILi256EEE.private_seg_size)
	.set .L_ZN3sop12sopFactorRecEPNS_3SopEiP7VecsMemIjLi8192EEPN8subgUtil4SubgILi256EEE.uses_vcc, or(1, .L__assert_fail.uses_vcc, .L_ZN3sop23sopFactorTrivialCubeRecEjiiPN8subgUtil4SubgILi256EEE.uses_vcc, .L_ZN3sop19sopFactorTrivialRecEPjiiPN8subgUtil4SubgILi256EEE.uses_vcc)
	.set .L_ZN3sop12sopFactorRecEPNS_3SopEiP7VecsMemIjLi8192EEPN8subgUtil4SubgILi256EEE.uses_flat_scratch, or(0, .L__assert_fail.uses_flat_scratch, .L_ZN3sop23sopFactorTrivialCubeRecEjiiPN8subgUtil4SubgILi256EEE.uses_flat_scratch, .L_ZN3sop19sopFactorTrivialRecEPjiiPN8subgUtil4SubgILi256EEE.uses_flat_scratch)
	.set .L_ZN3sop12sopFactorRecEPNS_3SopEiP7VecsMemIjLi8192EEPN8subgUtil4SubgILi256EEE.has_dyn_sized_stack, or(0, .L__assert_fail.has_dyn_sized_stack, .L_ZN3sop23sopFactorTrivialCubeRecEjiiPN8subgUtil4SubgILi256EEE.has_dyn_sized_stack, .L_ZN3sop19sopFactorTrivialRecEPjiiPN8subgUtil4SubgILi256EEE.has_dyn_sized_stack)
	.set .L_ZN3sop12sopFactorRecEPNS_3SopEiP7VecsMemIjLi8192EEPN8subgUtil4SubgILi256EEE.has_recursion, or(1, .L__assert_fail.has_recursion, .L_ZN3sop23sopFactorTrivialCubeRecEjiiPN8subgUtil4SubgILi256EEE.has_recursion, .L_ZN3sop19sopFactorTrivialRecEPjiiPN8subgUtil4SubgILi256EEE.has_recursion)
	.set .L_ZN3sop12sopFactorRecEPNS_3SopEiP7VecsMemIjLi8192EEPN8subgUtil4SubgILi256EEE.has_indirect_call, or(0, .L__assert_fail.has_indirect_call, .L_ZN3sop23sopFactorTrivialCubeRecEjiiPN8subgUtil4SubgILi256EEE.has_indirect_call, .L_ZN3sop19sopFactorTrivialRecEPjiiPN8subgUtil4SubgILi256EEE.has_indirect_call)
	.section	.AMDGPU.csdata,"",@progbits
; Function info:
; codeLenInByte = 106116
; TotalNumSgprs: 104
; NumVgprs: 83
; NumAgprs: 0
; TotalNumVgprs: 83
; ScratchSize: 320
; MemoryBound: 0
	.text
	.protected	_Z8resynCutPKiS0_S0_S0_PKyPKjiS0_PyPiS6_S6_PjS0_S4_ii ; -- Begin function _Z8resynCutPKiS0_S0_S0_PKyPKjiS0_PyPiS6_S6_PjS0_S4_ii
	.globl	_Z8resynCutPKiS0_S0_S0_PKyPKjiS0_PyPiS6_S6_PjS0_S4_ii
	.p2align	8
	.type	_Z8resynCutPKiS0_S0_S0_PKyPKjiS0_PyPiS6_S6_PjS0_S4_ii,@function
_Z8resynCutPKiS0_S0_S0_PKyPKjiS0_PyPiS6_S6_PjS0_S4_ii: ; @_Z8resynCutPKiS0_S0_S0_PKyPKjiS0_PyPiS6_S6_PjS0_S4_ii
; %bb.0:
	s_mov_b64 s[84:85], s[0:1]
	s_load_dword s8, s[0:1], 0x7c
	s_nop 0
	s_load_dword s0, s[0:1], 0x8c
	s_add_u32 s4, s84, 0x80
	s_addc_u32 s5, s85, 0
                                        ; implicit-def: $vgpr79 : SGPR spill to VGPR lane
	s_movk_i32 s88, 0x1024
	v_writelane_b32 v79, s4, 0
	v_mov_b32_e32 v91, 0
	scratch_store_dword off, v91, s88 offset:44
	v_writelane_b32 v79, s5, 1
	s_waitcnt lgkmcnt(0)
	s_and_b32 s4, s0, 0xffff
	s_mul_i32 s2, s2, s4
	s_mov_b32 s0, 0x9058
	v_add_u32_e32 v62, s2, v0
	scratch_store_dword off, v91, s0
	scratch_store_dword off, v91, s0 offset:2056
	s_mov_b64 s[2:3], -1
	s_mov_b64 s[0:1], 0
	s_mov_b64 s[78:79], 0
	;; [unrolled: 1-line block ×28, first 2 shown]
	s_mov_b32 s32, 0xa070
	v_cmp_gt_i32_e32 vcc, s8, v62
	s_mov_b64 s[6:7], exec
	v_writelane_b32 v79, s6, 2
	s_nop 1
	v_writelane_b32 v79, s7, 3
	s_and_b64 s[6:7], s[6:7], vcc
	s_mov_b64 exec, s[6:7]
	s_cbranch_execz .LBB7_332
; %bb.1:
	s_mov_b64 s[0:1], src_private_base
	v_writelane_b32 v79, s0, 4
	s_load_dword s2, s[84:85], 0x30
	v_mov_b32_e32 v108, v91
	v_writelane_b32 v79, s1, 5
	v_mov_b32_e32 v109, v91
	v_readlane_b32 s0, v79, 0
	v_readlane_b32 s1, v79, 1
	s_load_dword s0, s[0:1], 0x0
	s_nop 0
	s_load_dwordx4 s[12:15], s[84:85], 0x20
	s_waitcnt lgkmcnt(0)
	s_ashr_i32 s3, s2, 31
	v_mov_b32_e32 v43, 0x1050
	v_mov_b32_e32 v92, 3
	s_mul_i32 s0, s0, s4
	v_writelane_b32 v79, s12, 6
	v_mov_b32_e32 v93, 1
	v_mov_b32_e32 v44, 0x820
	v_writelane_b32 v79, s13, 7
	v_writelane_b32 v79, s14, 8
	;; [unrolled: 1-line block ×4, first 2 shown]
	v_mov_b32_e32 v46, 0xc20
	v_mov_b32_e32 v56, 0x9860
	v_writelane_b32 v79, s3, 11
	v_writelane_b32 v79, s0, 12
	s_movk_i32 s0, 0x1054
	v_writelane_b32 v79, s0, 13
	s_mov_b32 s0, 0x9058
	v_add_u32_e64 v41, s0, 8
	s_mov_b32 s0, 0x9860
	v_add_u32_e64 v42, s0, 8
	s_lshl_b32 s0, s8, 1
	v_writelane_b32 v79, s8, 14
	s_add_i32 s0, s0, -1
	v_writelane_b32 v79, s0, 15
	s_mov_b64 s[0:1], 0
	v_writelane_b32 v79, s0, 16
	v_mov_b32_e32 v57, 16
	v_mov_b32_e32 v58, 0x410
	v_writelane_b32 v79, s1, 17
                                        ; implicit-def: $sgpr0_sgpr1
                                        ; kill: killed $sgpr0_sgpr1
                                        ; implicit-def: $sgpr0_sgpr1
                                        ; kill: killed $sgpr0_sgpr1
                                        ; implicit-def: $sgpr0_sgpr1
                                        ; kill: killed $sgpr0_sgpr1
                                        ; implicit-def: $sgpr0_sgpr1
                                        ; kill: killed $sgpr0_sgpr1
                                        ; implicit-def: $sgpr0_sgpr1
                                        ; kill: killed $sgpr0_sgpr1
                                        ; implicit-def: $sgpr0_sgpr1
                                        ; kill: killed $sgpr0_sgpr1
                                        ; implicit-def: $sgpr0_sgpr1
                                        ; kill: killed $sgpr0_sgpr1
                                        ; implicit-def: $sgpr0_sgpr1
                                        ; kill: killed $sgpr0_sgpr1
                                        ; implicit-def: $sgpr0_sgpr1
                                        ; kill: killed $sgpr0_sgpr1
                                        ; implicit-def: $sgpr0_sgpr1
                                        ; kill: killed $sgpr0_sgpr1
                                        ; implicit-def: $sgpr0_sgpr1
                                        ; kill: killed $sgpr0_sgpr1
                                        ; implicit-def: $sgpr0_sgpr1
                                        ; kill: killed $sgpr0_sgpr1
                                        ; implicit-def: $sgpr0_sgpr1
                                        ; kill: killed $sgpr0_sgpr1
                                        ; implicit-def: $sgpr0_sgpr1
                                        ; kill: killed $sgpr0_sgpr1
                                        ; implicit-def: $sgpr0_sgpr1
                                        ; kill: killed $sgpr0_sgpr1
                                        ; implicit-def: $sgpr0_sgpr1
                                        ; kill: killed $sgpr0_sgpr1
                                        ; implicit-def: $sgpr0_sgpr1
                                        ; kill: killed $sgpr0_sgpr1
                                        ; implicit-def: $sgpr0_sgpr1
                                        ; kill: killed $sgpr0_sgpr1
                                        ; implicit-def: $sgpr0_sgpr1
                                        ; kill: killed $sgpr0_sgpr1
                                        ; implicit-def: $sgpr0_sgpr1
                                        ; kill: killed $sgpr0_sgpr1
                                        ; implicit-def: $sgpr0_sgpr1
                                        ; kill: killed $sgpr0_sgpr1
                                        ; implicit-def: $sgpr0_sgpr1
                                        ; kill: killed $sgpr0_sgpr1
                                        ; implicit-def: $sgpr0_sgpr1
                                        ; kill: killed $sgpr0_sgpr1
                                        ; implicit-def: $sgpr0_sgpr1
                                        ; kill: killed $sgpr0_sgpr1
                                        ; implicit-def: $sgpr0_sgpr1
                                        ; kill: killed $sgpr0_sgpr1
                                        ; implicit-def: $sgpr0_sgpr1
                                        ; kill: killed $sgpr0_sgpr1
                                        ; implicit-def: $sgpr0_sgpr1
                                        ; kill: killed $sgpr0_sgpr1
                                        ; implicit-def: $sgpr0_sgpr1
                                        ; kill: killed $sgpr0_sgpr1
                                        ; implicit-def: $vgpr59
                                        ; implicit-def: $vgpr72
                                        ; implicit-def: $sgpr86_sgpr87
                                        ; implicit-def: $sgpr66_sgpr67
	s_load_dwordx4 s[0:3], s[84:85], 0x58
	s_waitcnt lgkmcnt(0)
	v_writelane_b32 v79, s0, 18
	s_nop 1
	v_writelane_b32 v79, s1, 19
	v_writelane_b32 v79, s2, 20
	;; [unrolled: 1-line block ×3, first 2 shown]
	s_load_dwordx8 s[0:7], s[84:85], 0x0
	s_waitcnt lgkmcnt(0)
	v_writelane_b32 v79, s0, 22
	s_nop 1
	v_writelane_b32 v79, s1, 23
	v_writelane_b32 v79, s2, 24
	;; [unrolled: 1-line block ×7, first 2 shown]
	s_load_dwordx8 s[0:7], s[84:85], 0x38
	s_waitcnt lgkmcnt(0)
	v_writelane_b32 v79, s0, 30
	s_nop 1
	v_writelane_b32 v79, s1, 31
	v_writelane_b32 v79, s2, 32
	;; [unrolled: 1-line block ×8, first 2 shown]
	s_nop 1
	v_writelane_b32 v79, s85, 39
	v_writelane_b32 v79, s88, 40
	s_branch .LBB7_15
.LBB7_2:                                ;   in Loop: Header=BB7_15 Depth=1
	s_or_b64 exec, exec, s[82:83]
	s_andn2_b64 s[34:35], s[34:35], exec
	s_and_b64 s[24:25], s[24:25], exec
	s_andn2_b64 s[50:51], s[50:51], exec
	s_and_b64 s[76:77], s[76:77], exec
	;; [unrolled: 2-line block ×10, first 2 shown]
	s_or_b64 s[34:35], s[34:35], s[24:25]
	s_andn2_b64 s[24:25], s[30:31], exec
	s_and_b64 s[0:1], s[0:1], exec
	s_or_b64 s[50:51], s[50:51], s[76:77]
	s_and_b64 s[76:77], s[78:79], exec
	s_and_b64 s[74:75], s[74:75], exec
	;; [unrolled: 1-line block ×5, first 2 shown]
	s_or_b64 s[48:49], s[48:49], s[66:67]
	s_or_b64 s[28:29], s[28:29], s[64:65]
	;; [unrolled: 1-line block ×9, first 2 shown]
	s_orn2_b64 s[2:3], s[2:3], exec
.LBB7_3:                                ;   in Loop: Header=BB7_15 Depth=1
	s_or_b64 exec, exec, s[26:27]
	s_andn2_b64 s[0:1], s[20:21], exec
	s_and_b64 s[20:21], s[50:51], exec
	s_or_b64 s[20:21], s[0:1], s[20:21]
	s_and_b64 s[0:1], s[28:29], exec
	s_andn2_b64 s[18:19], s[18:19], exec
	s_and_b64 s[28:29], s[46:47], exec
	s_or_b64 s[18:19], s[18:19], s[28:29]
	s_andn2_b64 s[16:17], s[16:17], exec
	s_and_b64 s[28:29], s[44:45], exec
	s_or_b64 s[16:17], s[16:17], s[28:29]
	;; [unrolled: 3-line block ×7, first 2 shown]
	s_andn2_b64 s[6:7], s[6:7], exec
	s_and_b64 s[28:29], s[30:31], exec
	s_and_b64 s[56:57], s[76:77], exec
	;; [unrolled: 1-line block ×7, first 2 shown]
	s_or_b64 s[6:7], s[6:7], s[28:29]
	s_orn2_b64 s[2:3], s[2:3], exec
.LBB7_4:                                ;   in Loop: Header=BB7_15 Depth=1
	s_or_b64 exec, exec, s[22:23]
	v_readlane_b32 s22, v77, 21
	v_readlane_b32 s23, v77, 22
	s_andn2_b64 s[22:23], s[22:23], exec
	s_and_b64 s[20:21], s[20:21], exec
	s_or_b64 s[20:21], s[22:23], s[20:21]
	v_writelane_b32 v77, s20, 21
	s_and_b64 s[12:13], s[12:13], exec
	s_and_b64 s[10:11], s[10:11], exec
	v_writelane_b32 v77, s21, 22
	s_and_b64 s[20:21], s[0:1], exec
	s_and_b64 s[0:1], s[4:5], exec
	v_readlane_b32 s4, v77, 19
	v_readlane_b32 s5, v77, 20
	s_andn2_b64 s[4:5], s[4:5], exec
	s_or_b64 s[4:5], s[4:5], s[12:13]
	v_writelane_b32 v77, s4, 19
	s_and_b64 s[8:9], s[8:9], exec
	s_and_b64 s[6:7], s[6:7], exec
	v_writelane_b32 v77, s5, 20
	s_and_b64 s[36:37], s[56:57], exec
	v_readlane_b32 s4, v77, 23
	v_readlane_b32 s5, v77, 24
	s_andn2_b64 s[4:5], s[4:5], exec
	s_or_b64 s[4:5], s[4:5], s[10:11]
	v_writelane_b32 v77, s4, 23
	s_and_b64 s[34:35], s[54:55], exec
	s_and_b64 s[30:31], s[52:53], exec
	v_writelane_b32 v77, s5, 24
	s_and_b64 s[28:29], s[50:51], exec
	v_readlane_b32 s4, v77, 29
	v_readlane_b32 s5, v77, 30
	s_andn2_b64 s[4:5], s[4:5], exec
	s_or_b64 s[10:11], s[4:5], s[8:9]
	v_readlane_b32 s4, v77, 27
	v_readlane_b32 s5, v77, 28
	s_andn2_b64 s[4:5], s[4:5], exec
	s_and_b64 s[26:27], s[26:27], exec
	s_and_b64 s[22:23], s[24:25], exec
	;; [unrolled: 1-line block ×5, first 2 shown]
	s_or_b64 s[12:13], s[4:5], s[6:7]
	s_orn2_b64 s[2:3], s[2:3], exec
.LBB7_5:                                ;   in Loop: Header=BB7_15 Depth=1
	v_readlane_b32 s4, v77, 25
	v_readlane_b32 s5, v77, 26
	s_or_b64 exec, exec, s[4:5]
	v_readlane_b32 s4, v77, 21
	v_readlane_b32 s5, v77, 22
	s_orn2_b64 s[40:41], s[4:5], exec
	s_mov_b64 s[4:5], s[10:11]
	s_and_b64 s[10:11], s[0:1], exec
	v_readlane_b32 s0, v77, 19
	v_readlane_b32 s1, v77, 20
	s_and_b64 s[8:9], s[0:1], exec
	v_readlane_b32 s0, v77, 23
	s_and_b64 s[24:25], s[26:27], exec
	s_mov_b64 s[26:27], s[12:13]
	v_readlane_b32 s1, v77, 24
	s_and_b64 s[44:45], s[36:37], exec
	s_and_b64 s[42:43], s[34:35], exec
	;; [unrolled: 1-line block ×12, first 2 shown]
	s_orn2_b64 s[2:3], s[2:3], exec
.LBB7_6:                                ;   in Loop: Header=BB7_15 Depth=1
	v_readlane_b32 s14, v77, 17
	v_readlane_b32 s15, v77, 18
	s_or_b64 exec, exec, s[14:15]
	s_and_b64 s[40:41], s[40:41], exec
	s_and_b64 s[34:35], s[44:45], exec
	;; [unrolled: 1-line block ×16, first 2 shown]
	s_xor_b64 s[4:5], exec, -1
	s_orn2_b64 s[2:3], s[2:3], exec
.LBB7_7:                                ;   in Loop: Header=BB7_15 Depth=1
	v_readlane_b32 s36, v77, 15
	v_readlane_b32 s37, v77, 16
	s_or_b64 exec, exec, s[36:37]
	s_and_b64 s[36:37], s[34:35], exec
	s_and_b64 s[34:35], s[30:31], exec
	;; [unrolled: 1-line block ×16, first 2 shown]
	v_readlane_b32 s4, v77, 11
	v_readlane_b32 s5, v77, 12
	s_andn2_b64 s[4:5], s[4:5], exec
	v_writelane_b32 v77, s4, 11
	s_and_b64 s[38:39], s[40:41], exec
	s_orn2_b64 s[2:3], s[2:3], exec
	v_writelane_b32 v77, s5, 12
	s_nop 0
	v_readlane_b32 s4, v77, 1
	v_readlane_b32 s5, v77, 2
	s_andn2_b64 s[4:5], s[4:5], exec
	v_writelane_b32 v77, s4, 1
	s_nop 1
	v_writelane_b32 v77, s5, 2
	s_nop 0
	v_readlane_b32 s4, v77, 9
	v_readlane_b32 s5, v77, 10
	s_andn2_b64 s[4:5], s[4:5], exec
	v_writelane_b32 v77, s4, 9
	s_nop 1
	;; [unrolled: 7-line block ×5, first 2 shown]
	v_writelane_b32 v77, s5, 4
.LBB7_8:                                ;   in Loop: Header=BB7_15 Depth=1
	s_nop 0
	v_readlane_b32 s4, v77, 13
	v_readlane_b32 s5, v77, 14
	s_or_b64 exec, exec, s[4:5]
	v_readlane_b32 s42, v78, 59
	v_readlane_b32 s44, v77, 9
	;; [unrolled: 1-line block ×4, first 2 shown]
	s_andn2_b64 s[42:43], s[42:43], exec
	s_and_b64 s[44:45], s[44:45], exec
	s_or_b64 s[42:43], s[42:43], s[44:45]
	v_writelane_b32 v78, s42, 59
	v_readlane_b32 s44, v77, 7
	v_readlane_b32 s45, v77, 8
	v_writelane_b32 v78, s43, 60
	s_and_b64 s[44:45], s[44:45], exec
	v_readlane_b32 s42, v78, 57
	v_readlane_b32 s43, v78, 58
	s_andn2_b64 s[42:43], s[42:43], exec
	s_or_b64 s[42:43], s[42:43], s[44:45]
	v_writelane_b32 v78, s42, 57
	v_readlane_b32 s44, v77, 5
	v_readlane_b32 s45, v77, 6
	v_writelane_b32 v78, s43, 58
	s_and_b64 s[44:45], s[44:45], exec
	v_readlane_b32 s42, v78, 55
	v_readlane_b32 s43, v78, 56
	s_andn2_b64 s[42:43], s[42:43], exec
	s_or_b64 s[42:43], s[42:43], s[44:45]
	v_writelane_b32 v78, s42, 55
	s_and_b64 s[40:41], s[38:39], exec
	s_and_b64 s[38:39], s[36:37], exec
	v_writelane_b32 v78, s43, 56
	s_and_b64 s[36:37], s[34:35], exec
	s_and_b64 s[34:35], s[30:31], exec
	s_and_b64 s[30:31], s[28:29], exec
	s_and_b64 s[28:29], s[26:27], exec
	s_and_b64 s[26:27], s[24:25], exec
	s_and_b64 s[24:25], s[22:23], exec
	s_and_b64 s[22:23], s[20:21], exec
	s_and_b64 s[20:21], s[18:19], exec
	s_and_b64 s[18:19], s[16:17], exec
	s_and_b64 s[16:17], s[14:15], exec
	s_and_b64 s[14:15], s[12:13], exec
	s_and_b64 s[12:13], s[10:11], exec
	s_and_b64 s[10:11], s[8:9], exec
	s_and_b64 s[8:9], s[6:7], exec
	s_and_b64 s[6:7], s[0:1], exec
	v_readlane_b32 s0, v77, 11
	v_readlane_b32 s42, v78, 53
	;; [unrolled: 1-line block ×6, first 2 shown]
	s_and_b64 s[4:5], s[0:1], exec
	v_readlane_b32 s0, v77, 1
	s_andn2_b64 s[42:43], s[42:43], exec
	s_and_b64 s[44:45], s[44:45], exec
	v_readlane_b32 s1, v77, 2
	s_or_b64 s[42:43], s[42:43], s[44:45]
	s_and_b64 s[0:1], s[0:1], exec
	v_writelane_b32 v78, s42, 53
	s_orn2_b64 s[2:3], s[2:3], exec
	s_nop 0
	v_writelane_b32 v78, s43, 54
.LBB7_9:                                ;   in Loop: Header=BB7_15 Depth=1
	s_nop 0
	v_readlane_b32 s42, v78, 61
	v_readlane_b32 s43, v78, 62
	s_or_b64 exec, exec, s[42:43]
	s_and_b64 s[46:47], s[36:37], exec
	s_and_b64 s[36:37], s[26:27], exec
	s_and_b64 s[26:27], s[18:19], exec
	s_and_b64 s[18:19], s[10:11], exec
	s_and_b64 s[10:11], s[0:1], exec
	v_readlane_b32 s0, v78, 59
	v_readlane_b32 s1, v78, 60
	s_and_b64 s[44:45], s[34:35], exec
	s_and_b64 s[34:35], s[24:25], exec
	s_and_b64 s[24:25], s[16:17], exec
	s_and_b64 s[16:17], s[8:9], exec
	s_and_b64 s[8:9], s[0:1], exec
	v_readlane_b32 s0, v78, 57
	v_readlane_b32 s1, v78, 58
	;; [unrolled: 7-line block ×3, first 2 shown]
	s_and_b64 s[48:49], s[38:39], exec
	s_and_b64 s[38:39], s[28:29], exec
	;; [unrolled: 1-line block ×6, first 2 shown]
	v_readlane_b32 s0, v78, 53
	v_readlane_b32 s1, v78, 54
	s_and_b64 s[50:51], s[40:41], exec
	s_orn2_b64 s[40:41], s[0:1], exec
	s_orn2_b64 s[0:1], s[2:3], exec
.LBB7_10:                               ;   in Loop: Header=BB7_15 Depth=1
	v_readlane_b32 s2, v78, 51
	v_readlane_b32 s3, v78, 52
	s_or_b64 exec, exec, s[2:3]
	s_and_b64 s[2:3], s[40:41], exec
	v_readlane_b32 s40, v78, 41
	v_readlane_b32 s41, v78, 42
	s_andn2_b64 s[40:41], s[40:41], exec
	v_writelane_b32 v78, s40, 41
	s_and_b64 s[50:51], s[50:51], exec
	s_and_b64 s[48:49], s[48:49], exec
	v_writelane_b32 v78, s41, 42
	s_and_b64 s[46:47], s[46:47], exec
	v_readlane_b32 s40, v78, 43
	v_readlane_b32 s41, v78, 44
	s_andn2_b64 s[40:41], s[40:41], exec
	v_writelane_b32 v78, s40, 43
	s_and_b64 s[44:45], s[44:45], exec
	s_and_b64 s[42:43], s[42:43], exec
	v_writelane_b32 v78, s41, 44
	;; [unrolled: 8-line block ×4, first 2 shown]
	s_and_b64 s[24:25], s[24:25], exec
	v_readlane_b32 s52, v78, 49
	s_and_b64 s[22:23], s[22:23], exec
	s_and_b64 s[20:21], s[20:21], exec
	;; [unrolled: 1-line block ×10, first 2 shown]
	s_orn2_b64 s[0:1], s[0:1], exec
	v_readlane_b32 s53, v78, 50
.LBB7_11:                               ;   in Loop: Header=BB7_15 Depth=1
	s_or_b64 exec, exec, s[52:53]
	s_and_b64 s[56:57], s[50:51], exec
	s_and_b64 s[50:51], s[44:45], exec
	;; [unrolled: 1-line block ×7, first 2 shown]
	v_readlane_b32 s2, v78, 41
	v_readlane_b32 s3, v78, 42
	s_and_b64 s[54:55], s[48:49], exec
	s_and_b64 s[48:49], s[42:43], exec
	;; [unrolled: 1-line block ×7, first 2 shown]
	v_readlane_b32 s2, v78, 43
	v_readlane_b32 s3, v78, 44
	s_and_b64 s[40:41], s[30:31], exec
	s_and_b64 s[30:31], s[22:23], exec
	;; [unrolled: 1-line block ×5, first 2 shown]
	v_readlane_b32 s2, v78, 45
	v_readlane_b32 s3, v78, 46
	s_and_b64 s[52:53], s[46:47], exec
	s_and_b64 s[46:47], s[38:39], exec
	;; [unrolled: 1-line block ×7, first 2 shown]
	v_readlane_b32 s2, v78, 47
	v_readlane_b32 s3, v78, 48
	s_and_b64 s[2:3], s[2:3], exec
	s_orn2_b64 s[0:1], s[0:1], exec
.LBB7_12:                               ;   in Loop: Header=BB7_15 Depth=1
	s_or_b64 exec, exec, s[90:91]
	s_and_b64 s[58:59], s[56:57], exec
	s_and_b64 s[56:57], s[54:55], exec
	;; [unrolled: 1-line block ×27, first 2 shown]
	s_xor_b64 s[4:5], exec, -1
	s_orn2_b64 s[0:1], s[0:1], exec
.LBB7_13:                               ;   in Loop: Header=BB7_15 Depth=1
	v_readlane_b32 s60, v79, 45
	v_readlane_b32 s61, v79, 46
	s_or_b64 exec, exec, s[60:61]
	v_readlane_b32 s60, v79, 43
	v_readlane_b32 s61, v79, 44
	s_andn2_b64 s[60:61], s[60:61], exec
	s_and_b64 s[58:59], s[58:59], exec
	s_or_b64 s[64:65], s[60:61], s[58:59]
	s_and_b64 s[58:59], s[56:57], exec
	s_and_b64 s[56:57], s[54:55], exec
	;; [unrolled: 1-line block ×27, first 2 shown]
	s_xor_b64 s[4:5], exec, -1
	s_orn2_b64 s[0:1], s[0:1], exec
.LBB7_14:                               ;   in Loop: Header=BB7_15 Depth=1
	v_readlane_b32 s60, v79, 41
	v_readlane_b32 s61, v79, 42
	s_or_b64 exec, exec, s[60:61]
	s_xor_b64 s[58:59], s[58:59], -1
	s_xor_b64 s[56:57], s[56:57], -1
	;; [unrolled: 1-line block ×28, first 2 shown]
	v_readlane_b32 s62, v79, 16
	s_and_b64 s[0:1], exec, s[0:1]
	v_readlane_b32 s63, v79, 17
	s_or_b64 s[62:63], s[0:1], s[62:63]
	v_readlane_b32 s0, v79, 47
	v_readlane_b32 s1, v79, 48
	s_andn2_b64 s[0:1], s[0:1], exec
	s_and_b64 s[60:61], s[64:65], exec
	s_or_b64 s[0:1], s[0:1], s[60:61]
	v_writelane_b32 v79, s0, 47
	s_and_b64 s[58:59], s[58:59], exec
	s_and_b64 s[56:57], s[56:57], exec
	v_writelane_b32 v79, s1, 48
	s_andn2_b64 s[0:1], s[86:87], exec
	s_or_b64 s[86:87], s[0:1], s[58:59]
	v_readlane_b32 s0, v79, 49
	v_readlane_b32 s1, v79, 50
	s_andn2_b64 s[0:1], s[0:1], exec
	s_or_b64 s[0:1], s[0:1], s[56:57]
	v_writelane_b32 v79, s0, 49
	s_and_b64 s[54:55], s[54:55], exec
	s_and_b64 s[52:53], s[52:53], exec
	v_writelane_b32 v79, s1, 50
	s_and_b64 s[50:51], s[50:51], exec
	v_readlane_b32 s0, v79, 51
	v_readlane_b32 s1, v79, 52
	s_andn2_b64 s[0:1], s[0:1], exec
	s_or_b64 s[0:1], s[0:1], s[54:55]
	v_writelane_b32 v79, s0, 51
	s_and_b64 s[48:49], s[48:49], exec
	s_and_b64 s[46:47], s[46:47], exec
	v_writelane_b32 v79, s1, 52
	s_and_b64 s[44:45], s[44:45], exec
	;; [unrolled: 9-line block ×8, first 2 shown]
	v_readlane_b32 s0, v78, 1
	v_readlane_b32 s1, v78, 2
	s_andn2_b64 s[0:1], s[0:1], exec
	s_or_b64 s[0:1], s[0:1], s[40:41]
	v_writelane_b32 v78, s0, 1
	s_and_b64 s[2:3], s[2:3], exec
	s_mov_b64 s[66:67], s[64:65]
	v_writelane_b32 v78, s1, 2
	v_writelane_b32 v79, s62, 16
	v_readlane_b32 s0, v78, 3
	v_readlane_b32 s1, v78, 4
	s_andn2_b64 s[0:1], s[0:1], exec
	s_or_b64 s[0:1], s[0:1], s[38:39]
	v_writelane_b32 v78, s0, 3
	v_writelane_b32 v79, s63, 17
	s_nop 0
	v_writelane_b32 v78, s1, 4
	s_nop 0
	v_readlane_b32 s0, v78, 5
	v_readlane_b32 s1, v78, 6
	s_andn2_b64 s[0:1], s[0:1], exec
	s_or_b64 s[0:1], s[0:1], s[36:37]
	v_writelane_b32 v78, s0, 5
	s_nop 1
	v_writelane_b32 v78, s1, 6
	s_nop 0
	v_readlane_b32 s0, v78, 7
	v_readlane_b32 s1, v78, 8
	s_andn2_b64 s[0:1], s[0:1], exec
	s_or_b64 s[0:1], s[0:1], s[34:35]
	;; [unrolled: 8-line block ×16, first 2 shown]
	v_writelane_b32 v78, s0, 35
	s_and_b64 s[2:3], s[4:5], exec
	s_nop 0
	v_writelane_b32 v78, s1, 36
	s_nop 0
	v_readlane_b32 s0, v78, 37
	v_readlane_b32 s1, v78, 38
	s_andn2_b64 s[0:1], s[0:1], exec
	s_or_b64 s[0:1], s[0:1], s[2:3]
	v_writelane_b32 v78, s0, 37
	s_nop 1
	v_writelane_b32 v78, s1, 38
	s_andn2_b64 exec, exec, s[62:63]
	s_cbranch_execz .LBB7_271
.LBB7_15:                               ; =>This Loop Header: Depth=1
                                        ;     Child Loop BB7_21 Depth 2
                                        ;     Child Loop BB7_39 Depth 2
	;; [unrolled: 1-line block ×7, first 2 shown]
                                        ;       Child Loop BB7_104 Depth 3
                                        ;     Child Loop BB7_126 Depth 2
                                        ;     Child Loop BB7_130 Depth 2
	;; [unrolled: 1-line block ×9, first 2 shown]
                                        ;       Child Loop BB7_218 Depth 3
                                        ;     Child Loop BB7_253 Depth 2
	v_readlane_b32 s0, v79, 22
	v_ashrrev_i32_e32 v63, 31, v62
	v_readlane_b32 s1, v79, 23
	v_readlane_b32 s4, v79, 26
	;; [unrolled: 1-line block ×3, first 2 shown]
	v_lshl_add_u64 v[0:1], v[62:63], 2, s[0:1]
	global_load_dword v94, v[0:1], off
	v_readlane_b32 s6, v79, 28
	v_readlane_b32 s7, v79, 29
	s_load_dwordx2 s[0:1], s[84:85], 0x68
	v_cmp_ne_u32_e32 vcc, 0, v62
	v_readlane_b32 s2, v79, 24
	v_readlane_b32 s3, v79, 25
	s_waitcnt vmcnt(0)
	v_ashrrev_i32_e32 v95, 31, v94
	v_lshlrev_b64 v[0:1], 2, v[94:95]
	v_lshl_add_u64 v[2:3], s[4:5], 0, v[0:1]
	v_lshl_add_u64 v[0:1], s[6:7], 0, v[0:1]
	global_load_dword v40, v[2:3], off
	global_load_dword v73, v[0:1], off
	v_mov_b32_e32 v0, 0
	s_waitcnt lgkmcnt(0)
	v_lshl_add_u64 v[2:3], v[62:63], 2, s[0:1]
	s_and_saveexec_b64 s[0:1], vcc
	s_cbranch_execz .LBB7_17
; %bb.16:                               ;   in Loop: Header=BB7_15 Depth=1
	global_load_dword v0, v[2:3], off offset:-4
.LBB7_17:                               ;   in Loop: Header=BB7_15 Depth=1
	s_or_b64 exec, exec, s[0:1]
	global_load_dword v1, v[2:3], off
	s_waitcnt vmcnt(2)
	v_add_u32_e32 v2, -5, v40
	v_lshlrev_b32_e64 v2, v2, 1
	v_cmp_lt_i32_e32 vcc, 5, v40
	s_mov_b64 s[0:1], -1
	s_mov_b64 s[2:3], 0
	s_andn2_b64 s[64:65], s[66:67], exec
	s_mov_b64 s[4:5], -1
	s_mov_b64 s[6:7], 0
	s_mov_b64 s[8:9], 0
	;; [unrolled: 1-line block ×25, first 2 shown]
	v_cndmask_b32_e32 v76, 1, v2, vcc
	s_mov_b64 s[58:59], 0
	s_waitcnt vmcnt(0)
	v_sub_u32_e32 v1, v1, v0
	v_cmp_eq_u32_e32 vcc, v1, v76
	s_mov_b64 s[60:61], exec
	v_writelane_b32 v79, s60, 41
                                        ; implicit-def: $vgpr78 : SGPR spill to VGPR lane
	s_nop 1
	v_writelane_b32 v79, s61, 42
	s_and_b64 s[60:61], s[60:61], vcc
	s_mov_b64 exec, s[60:61]
	s_cbranch_execz .LBB7_14
; %bb.18:                               ;   in Loop: Header=BB7_15 Depth=1
	scratch_load_dword v1, off, s88 offset:44
	v_writelane_b32 v79, s64, 43
	s_waitcnt vmcnt(0)
	v_cmp_lt_i32_e32 vcc, -1, v1
	v_writelane_b32 v79, s65, 44
	s_mov_b64 s[60:61], exec
	v_writelane_b32 v79, s60, 45
	s_nop 1
	v_writelane_b32 v79, s61, 46
	s_and_b64 s[60:61], s[60:61], vcc
	s_mov_b64 exec, s[60:61]
	s_cbranch_execz .LBB7_13
; %bb.19:                               ;   in Loop: Header=BB7_15 Depth=1
	v_readlane_b32 s0, v79, 18
	v_ashrrev_i32_e32 v1, 31, v0
	v_readlane_b32 s2, v79, 20
	v_readlane_b32 s3, v79, 21
	s_add_u32 s8, s84, 0x80
	v_readlane_b32 s1, v79, 19
	v_lshl_add_u64 v[60:61], v[0:1], 2, s[2:3]
	v_readlane_b32 s2, v79, 4
	s_addc_u32 s9, s85, 0
	v_readlane_b32 s3, v79, 5
	v_writelane_b32 v78, s86, 39
	s_getpc_b64 s[0:1]
	s_add_u32 s0, s0, _ZN3sop13minatoIsopRecEPKjS1_iPNS_3SopEP7VecsMemIjLi8192EE@rel32@lo+4
	s_addc_u32 s1, s1, _ZN3sop13minatoIsopRecEPKjS1_iPNS_3SopEP7VecsMemIjLi8192EE@rel32@hi+12
	v_mov_b32_e32 v0, v60
	v_mov_b32_e32 v1, v61
	;; [unrolled: 1-line block ×9, first 2 shown]
	v_writelane_b32 v78, s87, 40
	scratch_store_dword off, v91, s88 offset:44
	s_swappc_b64 s[30:31], s[0:1]
	s_mov_b64 s[0:1], 0
	v_mov_b32_e32 v90, v76
                                        ; implicit-def: $sgpr58_sgpr59
                                        ; implicit-def: $sgpr4_sgpr5
                                        ; implicit-def: $sgpr2_sgpr3
	s_branch .LBB7_21
.LBB7_20:                               ;   in Loop: Header=BB7_21 Depth=2
	s_or_b64 exec, exec, s[6:7]
	s_and_b64 s[6:7], exec, s[4:5]
	s_or_b64 s[0:1], s[6:7], s[0:1]
	s_andn2_b64 s[6:7], s[58:59], exec
	s_and_b64 s[8:9], s[2:3], exec
	s_or_b64 s[58:59], s[6:7], s[8:9]
	s_andn2_b64 exec, exec, s[0:1]
	s_cbranch_execz .LBB7_23
.LBB7_21:                               ;   Parent Loop BB7_15 Depth=1
                                        ; =>  This Inner Loop Header: Depth=2
	v_cmp_lt_i32_e32 vcc, 0, v90
	s_or_b64 s[2:3], s[2:3], exec
	s_or_b64 s[4:5], s[4:5], exec
	s_and_saveexec_b64 s[6:7], vcc
	s_cbranch_execz .LBB7_20
; %bb.22:                               ;   in Loop: Header=BB7_21 Depth=2
	v_add_u32_e32 v90, -1, v90
	v_lshlrev_b64 v[2:3], 2, v[90:91]
	v_lshl_add_u64 v[4:5], v[60:61], 0, v[2:3]
	v_lshl_add_u64 v[2:3], v[0:1], 0, v[2:3]
	global_load_dword v4, v[4:5], off
	s_andn2_b64 s[4:5], s[4:5], exec
	flat_load_dword v2, v[2:3]
	s_andn2_b64 s[2:3], s[2:3], exec
	s_waitcnt vmcnt(0) lgkmcnt(0)
	v_cmp_ne_u32_e32 vcc, v4, v2
	s_and_b64 s[8:9], vcc, exec
	s_or_b64 s[4:5], s[4:5], s[8:9]
	s_branch .LBB7_20
.LBB7_23:                               ;   in Loop: Header=BB7_15 Depth=1
	s_or_b64 exec, exec, s[0:1]
	s_mov_b64 s[0:1], -1
	s_mov_b64 s[2:3], 0
	s_mov_b64 s[4:5], 0
	;; [unrolled: 1-line block ×27, first 2 shown]
	s_and_saveexec_b64 s[60:61], s[58:59]
	v_readlane_b32 s84, v79, 38
	v_readlane_b32 s86, v78, 39
	s_xor_b64 s[90:91], exec, s[60:61]
	v_readlane_b32 s85, v79, 39
	v_readlane_b32 s87, v78, 40
	;; [unrolled: 1-line block ×3, first 2 shown]
	s_cbranch_execz .LBB7_12
; %bb.24:                               ;   in Loop: Header=BB7_15 Depth=1
	s_nop 3
	scratch_load_dword v2, off, s88
	s_mov_b64 s[0:1], 0
	s_waitcnt vmcnt(0)
	v_cmp_lt_i32_e32 vcc, 0, v2
	s_and_saveexec_b64 s[2:3], vcc
	s_xor_b64 s[2:3], exec, s[2:3]
	s_cbranch_execz .LBB7_28
; %bb.25:                               ;   in Loop: Header=BB7_15 Depth=1
	v_cmp_eq_u32_e32 vcc, 1, v2
	s_mov_b64 s[4:5], -1
	s_and_saveexec_b64 s[8:9], vcc
	s_cbranch_execz .LBB7_27
; %bb.26:                               ;   in Loop: Header=BB7_15 Depth=1
	scratch_load_dwordx2 v[0:1], off, s88 offset:4
	s_waitcnt vmcnt(0)
	flat_load_dword v0, v[0:1]
	s_waitcnt vmcnt(0) lgkmcnt(0)
	v_cmp_eq_u32_e32 vcc, 0, v0
	v_cmp_ne_u32_e64 s[0:1], 0, v0
	s_and_b64 s[6:7], vcc, exec
	s_orn2_b64 s[4:5], s[0:1], exec
.LBB7_27:                               ;   in Loop: Header=BB7_15 Depth=1
	s_or_b64 exec, exec, s[8:9]
	s_and_b64 s[0:1], s[6:7], exec
	s_and_b64 s[4:5], s[4:5], exec
.LBB7_28:                               ;   in Loop: Header=BB7_15 Depth=1
	s_andn2_saveexec_b64 s[2:3], s[2:3]
; %bb.29:                               ;   in Loop: Header=BB7_15 Depth=1
	v_cmp_ne_u32_e32 vcc, 0, v2
	s_andn2_b64 s[4:5], s[4:5], exec
	s_and_b64 s[6:7], vcc, exec
	s_or_b64 s[0:1], s[0:1], exec
	s_or_b64 s[4:5], s[4:5], s[6:7]
; %bb.30:                               ;   in Loop: Header=BB7_15 Depth=1
	s_or_b64 exec, exec, s[2:3]
	s_mov_b64 s[2:3], 0
	v_writelane_b32 v78, s2, 41
	s_nop 1
	v_writelane_b32 v78, s3, 42
	s_mov_b64 s[2:3], 0
	v_writelane_b32 v78, s2, 47
	s_nop 1
	v_writelane_b32 v78, s3, 48
	;; [unrolled: 4-line block ×4, first 2 shown]
	s_and_saveexec_b64 s[2:3], s[4:5]
	s_cbranch_execz .LBB7_45
; %bb.31:                               ;   in Loop: Header=BB7_15 Depth=1
	v_cmp_lt_i32_e32 vcc, 0, v2
	s_mov_b64 s[10:11], -1
	v_mov_b32_e32 v3, -1
	s_mov_b64 s[8:9], 0
	s_mov_b64 s[4:5], 0
	s_and_saveexec_b64 s[6:7], vcc
	s_cbranch_execz .LBB7_35
; %bb.32:                               ;   in Loop: Header=BB7_15 Depth=1
	scratch_load_dword v0, off, s88 offset:44
	s_movk_i32 s4, 0x2001
	s_mov_b64 s[10:11], 0
	v_mov_b32_e32 v3, -1
	s_waitcnt vmcnt(0)
	v_add_u32_e32 v1, v0, v2
	v_cmp_gt_i32_e32 vcc, s4, v1
	s_and_saveexec_b64 s[4:5], vcc
	s_cbranch_execz .LBB7_34
; %bb.33:                               ;   in Loop: Header=BB7_15 Depth=1
	v_lshlrev_b32_e32 v0, 2, v0
	s_movk_i32 s12, 0x1050
	s_mov_b64 s[10:11], exec
	v_add3_u32 v3, s12, v0, 4
	scratch_store_dword off, v1, s88 offset:44
.LBB7_34:                               ;   in Loop: Header=BB7_15 Depth=1
	s_or_b64 exec, exec, s[4:5]
	s_mov_b64 s[4:5], exec
	s_orn2_b64 s[10:11], s[10:11], exec
.LBB7_35:                               ;   in Loop: Header=BB7_15 Depth=1
	s_or_b64 exec, exec, s[6:7]
	s_mov_b64 s[12:13], 0
	s_and_saveexec_b64 s[6:7], s[10:11]
	s_cbranch_execz .LBB7_44
; %bb.36:                               ;   in Loop: Header=BB7_15 Depth=1
	v_cmp_ne_u32_e32 vcc, -1, v3
	s_mov_b64 s[12:13], -1
	s_mov_b64 s[10:11], 0
	s_and_saveexec_b64 s[8:9], vcc
	s_cbranch_execz .LBB7_43
; %bb.37:                               ;   in Loop: Header=BB7_15 Depth=1
	v_cmp_lt_i32_e32 vcc, 0, v2
	s_and_saveexec_b64 s[10:11], vcc
	s_cbranch_execz .LBB7_42
; %bb.38:                               ;   in Loop: Header=BB7_15 Depth=1
	scratch_load_dwordx2 v[0:1], off, s88 offset:4
	s_mov_b64 s[12:13], 0
	v_mov_b32_e32 v4, v2
	v_mov_b32_e32 v5, v3
.LBB7_39:                               ;   Parent Loop BB7_15 Depth=1
                                        ; =>  This Inner Loop Header: Depth=2
	s_waitcnt vmcnt(0)
	flat_load_dword v6, v[0:1]
	v_add_u32_e32 v4, -1, v4
	v_cmp_eq_u32_e32 vcc, 0, v4
	v_lshl_add_u64 v[0:1], v[0:1], 0, 4
	s_or_b64 s[12:13], vcc, s[12:13]
	s_waitcnt vmcnt(0) lgkmcnt(0)
	scratch_store_dword v5, v6, off
	v_add_u32_e32 v5, 4, v5
	s_andn2_b64 exec, exec, s[12:13]
	s_cbranch_execnz .LBB7_39
; %bb.40:                               ;   in Loop: Header=BB7_15 Depth=1
	s_or_b64 exec, exec, s[12:13]
	s_mov_b64 s[12:13], 0
	v_mov_b32_e32 v0, v2
	v_readlane_b32 s14, v79, 13
.LBB7_41:                               ;   Parent Loop BB7_15 Depth=1
                                        ; =>  This Inner Loop Header: Depth=2
	scratch_load_dword v1, v3, off
	v_add_u32_e32 v0, -1, v0
	v_cmp_eq_u32_e32 vcc, 0, v0
	v_add_u32_e32 v3, 4, v3
	s_waitcnt vmcnt(0)
	scratch_store_dword off, v1, s14
	s_add_i32 s14, s14, 4
	s_or_b64 s[12:13], vcc, s[12:13]
	s_andn2_b64 exec, exec, s[12:13]
	s_cbranch_execnz .LBB7_41
.LBB7_42:                               ;   in Loop: Header=BB7_15 Depth=1
	s_or_b64 exec, exec, s[10:11]
	scratch_load_dword v0, off, s88 offset:44
	s_mov_b64 s[14:15], exec
	s_xor_b64 s[12:13], exec, -1
	s_waitcnt vmcnt(0)
	v_cmp_ge_i32_e32 vcc, v0, v2
	s_and_b64 s[10:11], vcc, exec
.LBB7_43:                               ;   in Loop: Header=BB7_15 Depth=1
	s_or_b64 exec, exec, s[8:9]
	s_and_b64 s[14:15], s[14:15], exec
	s_and_b64 s[12:13], s[12:13], exec
	s_andn2_b64 s[4:5], s[4:5], exec
	s_and_b64 s[8:9], s[10:11], exec
.LBB7_44:                               ;   in Loop: Header=BB7_15 Depth=1
	s_or_b64 exec, exec, s[6:7]
	s_and_b64 s[6:7], s[14:15], exec
	v_writelane_b32 v78, s6, 43
	s_and_b64 s[4:5], s[4:5], exec
	s_and_b64 s[40:41], s[8:9], exec
	v_writelane_b32 v78, s7, 44
	s_and_b64 s[6:7], s[12:13], exec
	v_writelane_b32 v78, s6, 45
	s_andn2_b64 s[0:1], s[0:1], exec
	s_nop 0
	v_writelane_b32 v78, s7, 46
	v_writelane_b32 v78, s4, 47
	s_nop 1
	v_writelane_b32 v78, s5, 48
.LBB7_45:                               ;   in Loop: Header=BB7_15 Depth=1
	s_or_b64 exec, exec, s[2:3]
	s_and_saveexec_b64 s[2:3], s[0:1]
	s_cbranch_execz .LBB7_47
; %bb.46:                               ;   in Loop: Header=BB7_15 Depth=1
	scratch_load_dword v0, off, s88 offset:44
	s_mov_b64 s[0:1], exec
	v_writelane_b32 v78, s0, 41
	scratch_store_dword off, v91, s88 offset:48
	s_waitcnt vmcnt(1)
	v_cmp_ge_i32_e32 vcc, v0, v2
	v_writelane_b32 v78, s1, 42
	s_and_b64 s[4:5], vcc, exec
	v_readlane_b32 s0, v78, 43
	v_readlane_b32 s1, v78, 44
	s_andn2_b64 s[0:1], s[0:1], exec
	v_writelane_b32 v78, s0, 43
	s_nop 1
	v_writelane_b32 v78, s1, 44
	s_nop 0
	v_readlane_b32 s0, v78, 45
	v_readlane_b32 s1, v78, 46
	s_andn2_b64 s[0:1], s[0:1], exec
	v_writelane_b32 v78, s0, 45
	s_nop 1
	v_writelane_b32 v78, s1, 46
	s_nop 0
	v_readlane_b32 s0, v78, 47
	v_readlane_b32 s1, v78, 48
	s_andn2_b64 s[0:1], s[0:1], exec
	v_writelane_b32 v78, s0, 47
	s_nop 1
	v_writelane_b32 v78, s1, 48
	s_andn2_b64 s[0:1], s[40:41], exec
	s_or_b64 s[40:41], s[0:1], s[4:5]
.LBB7_47:                               ;   in Loop: Header=BB7_15 Depth=1
	s_or_b64 exec, exec, s[2:3]
	s_mov_b64 s[0:1], -1
	s_mov_b64 s[2:3], 0
	s_mov_b64 s[4:5], 0
	;; [unrolled: 1-line block ×23, first 2 shown]
	s_and_saveexec_b64 s[52:53], s[40:41]
	s_cbranch_execz .LBB7_11
; %bb.48:                               ;   in Loop: Header=BB7_15 Depth=1
	v_writelane_b32 v78, s52, 49
	s_mov_b64 s[40:41], -1
	scratch_store_dword off, v2, s88 offset:44
	v_writelane_b32 v78, s53, 50
	v_cmp_gt_i32_e32 vcc, 16, v40
	s_mov_b64 s[2:3], exec
	v_writelane_b32 v78, s2, 51
	s_nop 1
	v_writelane_b32 v78, s3, 52
	s_and_b64 s[2:3], s[2:3], vcc
	s_mov_b64 exec, s[2:3]
	s_cbranch_execz .LBB7_10
; %bb.49:                               ;   in Loop: Header=BB7_15 Depth=1
	s_mov_b32 s0, 0x9058
	scratch_store_dword off, v40, s0
	v_cmp_lt_i32_e32 vcc, 0, v2
	s_mov_b64 s[0:1], 0
	s_mov_b64 s[98:99], 0
                                        ; implicit-def: $vgpr6
	s_and_saveexec_b64 s[2:3], vcc
	s_xor_b64 s[2:3], exec, s[2:3]
	s_cbranch_execz .LBB7_55
; %bb.50:                               ;   in Loop: Header=BB7_15 Depth=1
	v_cmp_eq_u32_e32 vcc, 1, v2
	s_mov_b64 s[0:1], -1
                                        ; implicit-def: $vgpr6
	s_and_saveexec_b64 s[4:5], vcc
	s_cbranch_execz .LBB7_54
; %bb.51:                               ;   in Loop: Header=BB7_15 Depth=1
	scratch_load_dword v0, off, s88 offset:48
                                        ; implicit-def: $vgpr6
	s_waitcnt vmcnt(0)
	v_cmp_ne_u32_e32 vcc, 0, v0
	v_cmp_eq_u32_e64 s[0:1], 0, v0
	s_and_saveexec_b64 s[8:9], s[0:1]
	s_xor_b64 s[0:1], exec, s[8:9]
	s_cbranch_execz .LBB7_53
; %bb.52:                               ;   in Loop: Header=BB7_15 Depth=1
	s_mov_b32 s8, 0x9058
	v_lshlrev_b32_e32 v0, 3, v40
	s_mov_b64 s[6:7], exec
	v_add_u32_e32 v6, 1, v40
	v_add3_u32 v0, s8, v0, 8
	scratch_store_dword off, v6, s8
	scratch_store_dwordx2 v0, v[108:109], off
.LBB7_53:                               ;   in Loop: Header=BB7_15 Depth=1
	s_or_b64 exec, exec, s[0:1]
	s_and_b64 s[6:7], s[6:7], exec
	s_orn2_b64 s[0:1], vcc, exec
.LBB7_54:                               ;   in Loop: Header=BB7_15 Depth=1
	s_or_b64 exec, exec, s[4:5]
	s_and_b64 s[98:99], s[6:7], exec
	s_and_b64 s[0:1], s[0:1], exec
.LBB7_55:                               ;   in Loop: Header=BB7_15 Depth=1
	s_andn2_saveexec_b64 s[2:3], s[2:3]
; %bb.56:                               ;   in Loop: Header=BB7_15 Depth=1
	v_cmp_ne_u32_e32 vcc, 0, v2
	s_andn2_b64 s[0:1], s[0:1], exec
	s_and_b64 s[4:5], vcc, exec
	s_mov_b64 s[14:15], exec
	s_or_b64 s[0:1], s[0:1], s[4:5]
; %bb.57:                               ;   in Loop: Header=BB7_15 Depth=1
	s_or_b64 exec, exec, s[2:3]
	s_mov_b64 s[2:3], -1
	v_writelane_b32 v78, s2, 53
	v_lshlrev_b32_e32 v104, 4, v94
	v_readlane_b32 s4, v79, 22
	v_writelane_b32 v78, s3, 54
	s_mov_b64 s[2:3], 0
	v_writelane_b32 v78, s2, 55
	v_ashrrev_i32_e32 v105, 31, v104
	v_readlane_b32 s6, v79, 24
	v_writelane_b32 v78, s3, 56
	s_mov_b64 s[2:3], 0
	v_writelane_b32 v78, s2, 57
	v_readlane_b32 s7, v79, 25
	v_mov_b32_e32 v74, v6
	v_writelane_b32 v78, s3, 58
	s_mov_b64 s[2:3], 0
	v_lshl_add_u64 v[106:107], v[104:105], 2, s[6:7]
	v_writelane_b32 v78, s2, 59
	v_readlane_b32 s5, v79, 23
	v_readlane_b32 s8, v79, 26
	;; [unrolled: 1-line block ×5, first 2 shown]
	v_writelane_b32 v78, s3, 60
	s_and_saveexec_b64 s[16:17], s[0:1]
                                        ; implicit-def: $vgpr77 : SGPR spill to VGPR lane
	s_cbranch_execz .LBB7_77
; %bb.58:                               ;   in Loop: Header=BB7_15 Depth=1
	v_cmp_lt_i32_e32 vcc, 0, v2
	v_mov_b32_e32 v0, -1
	s_mov_b64 s[4:5], -1
	s_mov_b64 s[2:3], 0
	s_mov_b64 s[12:13], -1
	s_mov_b64 s[8:9], 0
	scratch_store_dword off, v91, s88 offset:32
	s_and_saveexec_b64 s[0:1], vcc
	s_cbranch_execz .LBB7_62
; %bb.59:                               ;   in Loop: Header=BB7_15 Depth=1
	s_movk_i32 s4, 0x1001
	v_cmp_gt_u32_e32 vcc, s4, v2
	s_mov_b64 s[4:5], 0
	v_mov_b32_e32 v0, -1
	s_and_saveexec_b64 s[6:7], vcc
	s_cbranch_execz .LBB7_61
; %bb.60:                               ;   in Loop: Header=BB7_15 Depth=1
	v_lshlrev_b32_e32 v0, 1, v2
	scratch_store_dword off, v0, s88 offset:44
	v_lshl_add_u32 v0, v2, 3, v43
	v_lshlrev_b32_e32 v1, 2, v2
	v_sub_u32_e32 v0, v0, v1
	s_mov_b64 s[4:5], exec
	v_add_u32_e32 v0, 4, v0
.LBB7_61:                               ;   in Loop: Header=BB7_15 Depth=1
	s_or_b64 exec, exec, s[6:7]
	s_mov_b64 s[8:9], exec
	s_xor_b64 s[12:13], exec, -1
	s_orn2_b64 s[4:5], s[4:5], exec
.LBB7_62:                               ;   in Loop: Header=BB7_15 Depth=1
	s_or_b64 exec, exec, s[0:1]
	s_mov_b64 s[0:1], s[98:99]
	s_mov_b64 s[10:11], 0
                                        ; implicit-def: $vgpr6
                                        ; implicit-def: $vgpr74
	s_and_saveexec_b64 s[22:23], s[4:5]
	s_cbranch_execz .LBB7_76
; %bb.63:                               ;   in Loop: Header=BB7_15 Depth=1
	v_readlane_b32 s0, v79, 4
	v_readlane_b32 s1, v79, 5
	v_cmp_ne_u32_e32 vcc, -1, v0
	s_nop 0
	v_mov_b32_e32 v1, s1
	v_cndmask_b32_e32 v5, 0, v1, vcc
	v_cndmask_b32_e32 v4, 0, v0, vcc
	v_cmp_lt_i32_e32 vcc, 0, v2
	scratch_store_dwordx2 off, v[4:5], s88 offset:36
	s_and_saveexec_b64 s[0:1], vcc
	s_cbranch_execz .LBB7_67
; %bb.64:                               ;   in Loop: Header=BB7_15 Depth=1
	v_mov_b32_e32 v1, v2
	v_readlane_b32 s4, v79, 13
	s_mov_b32 s5, 0x55555555
.LBB7_65:                               ;   Parent Loop BB7_15 Depth=1
                                        ; =>  This Inner Loop Header: Depth=2
	s_nop 3
	scratch_load_dword v3, off, s4
	v_add_u32_e32 v1, -1, v1
	s_add_i32 s4, s4, 4
	v_cmp_eq_u32_e32 vcc, 0, v1
	s_or_b64 s[2:3], vcc, s[2:3]
	s_waitcnt vmcnt(0)
	v_lshrrev_b32_e32 v4, 1, v3
	v_bitop3_b32 v4, v4, s5, v3 bitop3:0xc8
	v_lshl_add_u32 v4, v4, 1, v4
	v_xor_b32_e32 v3, v4, v3
	scratch_store_dword v0, v3, off
	v_add_u32_e32 v0, 4, v0
	s_andn2_b64 exec, exec, s[2:3]
	s_cbranch_execnz .LBB7_65
; %bb.66:                               ;   in Loop: Header=BB7_15 Depth=1
	s_or_b64 exec, exec, s[2:3]
	scratch_store_dword off, v2, s88 offset:32
.LBB7_67:                               ;   in Loop: Header=BB7_15 Depth=1
	v_writelane_b32 v78, s22, 61
	s_nop 1
	v_writelane_b32 v78, s23, 62
	v_writelane_b32 v78, s12, 59
	s_nop 1
	v_writelane_b32 v78, s13, 60
	;; [unrolled: 3-line block ×6, first 2 shown]
	s_or_b64 exec, exec, s[0:1]
	s_add_u32 s8, s84, 0x80
	v_readlane_b32 s2, v79, 4
	s_addc_u32 s9, s85, 0
	v_readlane_b32 s3, v79, 5
	v_lshlrev_b32_e32 v2, 1, v40
	s_getpc_b64 s[0:1]
	s_add_u32 s0, s0, _ZN3sop12sopFactorRecEPNS_3SopEiP7VecsMemIjLi8192EEPN8subgUtil4SubgILi256EEE@rel32@lo+4
	s_addc_u32 s1, s1, _ZN3sop12sopFactorRecEPNS_3SopEiP7VecsMemIjLi8192EEPN8subgUtil4SubgILi256EEE@rel32@hi+12
	v_mov_b32_e32 v0, 0x1040
	v_mov_b32_e32 v1, s3
	;; [unrolled: 1-line block ×6, first 2 shown]
	s_swappc_b64 s[30:31], s[0:1]
	s_mov_b32 s0, 0x9058
	scratch_load_dword v6, off, s0
	v_ashrrev_i32_e32 v2, 1, v0
	v_cmp_ge_i32_e32 vcc, v2, v40
	s_mov_b64 s[0:1], s[98:99]
                                        ; implicit-def: $vgpr74
	s_and_saveexec_b64 s[2:3], vcc
	s_xor_b64 s[2:3], exec, s[2:3]
; %bb.68:                               ;   in Loop: Header=BB7_15 Depth=1
	v_add_u32_e32 v74, 1, v40
	s_or_b64 s[0:1], s[98:99], exec
                                        ; implicit-def: $vgpr2
                                        ; implicit-def: $vgpr0
; %bb.69:                               ;   in Loop: Header=BB7_15 Depth=1
	s_or_saveexec_b64 s[2:3], s[2:3]
	v_readlane_b32 s20, v78, 59
	v_readlane_b32 s18, v78, 57
	;; [unrolled: 1-line block ×10, first 2 shown]
	s_mov_b64 s[6:7], 0
	s_mov_b64 s[4:5], s[20:21]
	;; [unrolled: 1-line block ×4, first 2 shown]
	v_readlane_b32 s85, v79, 39
	v_readlane_b32 s87, v78, 40
	v_readlane_b32 s88, v79, 40
	v_readlane_b32 s91, v77, 0
	v_readlane_b32 s15, v78, 54
	v_readlane_b32 s17, v78, 56
	v_readlane_b32 s23, v78, 62
	s_xor_b64 exec, exec, s[2:3]
	s_cbranch_execz .LBB7_75
; %bb.70:                               ;   in Loop: Header=BB7_15 Depth=1
	s_waitcnt vmcnt(0)
	v_cmp_eq_u32_e32 vcc, v6, v40
	s_mov_b64 s[8:9], -1
	s_mov_b64 s[12:13], s[0:1]
                                        ; implicit-def: $vgpr6
	s_and_saveexec_b64 s[4:5], vcc
	s_cbranch_execz .LBB7_74
; %bb.71:                               ;   in Loop: Header=BB7_15 Depth=1
	v_ashrrev_i32_e32 v3, 31, v2
	v_lshl_add_u64 v[2:3], v[2:3], 2, v[106:107]
	global_load_dword v1, v[2:3], off
	s_mov_b64 s[10:11], s[0:1]
                                        ; implicit-def: $vgpr6
	s_waitcnt vmcnt(0)
	v_lshlrev_b32_e32 v1, 1, v1
	v_cmp_lt_i32_e32 vcc, -1, v1
	s_and_saveexec_b64 s[6:7], vcc
	s_xor_b64 s[6:7], exec, s[6:7]
	s_cbranch_execz .LBB7_73
; %bb.72:                               ;   in Loop: Header=BB7_15 Depth=1
	v_and_b32_e32 v0, 1, v0
	v_or_b32_e32 v1, v1, v0
	s_mov_b32 s8, 0x9058
	v_lshlrev_b32_e32 v2, 3, v40
	v_lshl_or_b32 v0, v1, 1, v0
	v_add_u32_e32 v6, 1, v40
	v_add3_u32 v2, s8, v2, 8
	scratch_store_dword off, v6, s8
	scratch_store_dwordx2 v2, v[0:1], off
	s_or_b64 s[10:11], s[0:1], exec
.LBB7_73:                               ;   in Loop: Header=BB7_15 Depth=1
	s_or_b64 exec, exec, s[6:7]
	s_andn2_b64 s[12:13], s[0:1], exec
	s_and_b64 s[10:11], s[10:11], exec
	s_mov_b64 s[6:7], exec
	s_xor_b64 s[8:9], exec, -1
	s_or_b64 s[12:13], s[12:13], s[10:11]
.LBB7_74:                               ;   in Loop: Header=BB7_15 Depth=1
	s_or_b64 exec, exec, s[4:5]
	s_andn2_b64 s[0:1], s[0:1], exec
	s_and_b64 s[12:13], s[12:13], exec
	s_and_b64 s[10:11], s[6:7], exec
	s_and_b64 s[6:7], s[8:9], exec
	s_andn2_b64 s[8:9], s[18:19], exec
	s_andn2_b64 s[4:5], s[20:21], exec
	s_or_b64 s[0:1], s[0:1], s[12:13]
	v_mov_b32_e32 v74, v6
.LBB7_75:                               ;   in Loop: Header=BB7_15 Depth=1
	s_or_b64 exec, exec, s[2:3]
	s_and_b64 s[2:3], s[6:7], exec
	s_andn2_b64 s[6:7], s[18:19], exec
	s_and_b64 s[8:9], s[8:9], exec
	s_or_b64 s[8:9], s[6:7], s[8:9]
	s_andn2_b64 s[6:7], s[20:21], exec
	s_and_b64 s[4:5], s[4:5], exec
	s_or_b64 s[12:13], s[6:7], s[4:5]
	s_andn2_b64 s[4:5], s[98:99], exec
	s_and_b64 s[0:1], s[0:1], exec
	s_and_b64 s[10:11], s[10:11], exec
	s_or_b64 s[0:1], s[4:5], s[0:1]
.LBB7_76:                               ;   in Loop: Header=BB7_15 Depth=1
	s_or_b64 exec, exec, s[22:23]
	s_and_b64 s[4:5], s[10:11], exec
	v_writelane_b32 v78, s4, 59
	s_and_b64 s[2:3], s[2:3], exec
	s_and_b64 s[0:1], s[0:1], exec
	v_writelane_b32 v78, s5, 60
	v_writelane_b32 v78, s2, 57
	s_andn2_b64 s[14:15], s[14:15], exec
	s_nop 0
	v_writelane_b32 v78, s3, 58
	s_and_b64 s[2:3], s[8:9], exec
	v_writelane_b32 v78, s2, 55
	s_nop 1
	v_writelane_b32 v78, s3, 56
	s_orn2_b64 s[2:3], s[12:13], exec
	v_writelane_b32 v78, s2, 53
	s_nop 1
	v_writelane_b32 v78, s3, 54
	s_andn2_b64 s[2:3], s[98:99], exec
	s_or_b64 s[98:99], s[2:3], s[0:1]
.LBB7_77:                               ;   in Loop: Header=BB7_15 Depth=1
	s_or_b64 exec, exec, s[16:17]
	s_and_saveexec_b64 s[0:1], s[14:15]
	s_cbranch_execz .LBB7_79
; %bb.78:                               ;   in Loop: Header=BB7_15 Depth=1
	s_waitcnt vmcnt(0)
	v_add_u32_e32 v6, 1, v40
	s_mov_b32 s2, 0x9058
	v_lshlrev_b32_e32 v0, 3, v40
	v_add3_u32 v0, s2, v0, 8
	s_or_b64 s[98:99], s[98:99], exec
	v_mov_b32_e32 v74, v6
	scratch_store_dword off, v6, s2
	scratch_store_dwordx2 v0, v[92:93], off
.LBB7_79:                               ;   in Loop: Header=BB7_15 Depth=1
	s_or_b64 exec, exec, s[0:1]
	s_mov_b64 s[2:3], -1
	s_mov_b64 s[0:1], 0
	s_mov_b64 s[4:5], 0
	;; [unrolled: 1-line block ×19, first 2 shown]
	s_mov_b64 s[42:43], exec
	v_writelane_b32 v78, s42, 61
	s_nop 1
	v_writelane_b32 v78, s43, 62
	s_and_b64 s[42:43], s[42:43], s[98:99]
	s_mov_b64 exec, s[42:43]
	s_cbranch_execz .LBB7_9
; %bb.80:                               ;   in Loop: Header=BB7_15 Depth=1
	s_mov_b64 s[2:3], 0
	s_waitcnt vmcnt(0)
	v_cmp_ne_u32_e64 s[0:1], v6, v74
	v_cmp_eq_u32_e32 vcc, v6, v74
	v_writelane_b32 v77, s2, 1
	s_nop 1
	v_writelane_b32 v77, s3, 2
	s_and_saveexec_b64 s[2:3], vcc
	s_cbranch_execz .LBB7_82
; %bb.81:                               ;   in Loop: Header=BB7_15 Depth=1
	v_lshlrev_b32_e32 v0, 3, v40
	s_mov_b32 s6, 0x9058
	v_add3_u32 v0, s6, v0, 8
	scratch_load_dwordx2 v[0:1], v0, off
	s_andn2_b64 s[0:1], s[0:1], exec
	s_mov_b64 s[4:5], exec
	s_waitcnt vmcnt(0)
	v_lshrrev_b32_e32 v0, 1, v0
	v_cmp_ne_u32_e32 vcc, v0, v1
	s_and_b64 s[6:7], vcc, exec
	s_or_b64 s[0:1], s[0:1], s[6:7]
.LBB7_82:                               ;   in Loop: Header=BB7_15 Depth=1
	s_or_b64 exec, exec, s[2:3]
	v_readlane_b32 s2, v78, 53
	v_readlane_b32 s3, v78, 54
	v_mov_b32_e32 v75, 0
	v_writelane_b32 v77, s2, 3
	s_nop 1
	v_writelane_b32 v77, s3, 4
	v_readlane_b32 s2, v78, 55
	v_readlane_b32 s3, v78, 56
	s_nop 0
	v_writelane_b32 v77, s2, 5
	s_nop 1
	v_writelane_b32 v77, s3, 6
	v_readlane_b32 s2, v78, 57
	v_readlane_b32 s3, v78, 58
	s_nop 0
	;; [unrolled: 6-line block ×3, first 2 shown]
	v_writelane_b32 v77, s2, 9
	s_nop 1
	v_writelane_b32 v77, s3, 10
	s_mov_b64 s[2:3], 0
	v_writelane_b32 v77, s2, 11
	s_nop 1
	v_writelane_b32 v77, s3, 12
	s_and_saveexec_b64 s[6:7], s[0:1]
	s_cbranch_execz .LBB7_122
; %bb.83:                               ;   in Loop: Header=BB7_15 Depth=1
	v_cmp_lt_i32_e32 vcc, 0, v40
	s_and_saveexec_b64 s[0:1], vcc
	s_cbranch_execz .LBB7_91
; %bb.84:                               ;   in Loop: Header=BB7_15 Depth=1
	v_cmp_ne_u32_e32 vcc, 1, v40
	s_mov_b64 s[8:9], -1
	v_mov_b32_e32 v90, 0
	s_and_saveexec_b64 s[2:3], vcc
	s_cbranch_execz .LBB7_88
; %bb.85:                               ;   in Loop: Header=BB7_15 Depth=1
	v_and_b32_e32 v90, 0x7ffffffe, v40
	v_readlane_b32 s12, v79, 30
	s_movk_i32 s10, 0xc20
	s_movk_i32 s11, 0x820
	s_mov_b64 s[8:9], 0
	v_mov_b64_e32 v[0:1], v[106:107]
	v_mov_b32_e32 v2, v90
	v_readlane_b32 s13, v79, 31
	v_readlane_b32 s14, v79, 32
	;; [unrolled: 1-line block ×7, first 2 shown]
.LBB7_86:                               ;   Parent Loop BB7_15 Depth=1
                                        ; =>  This Inner Loop Header: Depth=2
	global_load_dwordx2 v[4:5], v[0:1], off
	v_add_u32_e32 v2, -2, v2
	v_cmp_eq_u32_e32 vcc, 0, v2
	v_lshl_add_u64 v[0:1], v[0:1], 0, 8
	s_waitcnt vmcnt(0)
	scratch_store_dwordx2 off, v[4:5], s11
	v_ashrrev_i32_e32 v9, 31, v5
	v_mov_b32_e32 v8, v5
	v_ashrrev_i32_e32 v5, 31, v4
	v_lshl_add_u64 v[4:5], v[4:5], 2, s[12:13]
	v_lshl_add_u64 v[8:9], v[8:9], 2, s[12:13]
	global_load_dword v4, v[4:5], off
	s_nop 0
	global_load_dword v5, v[8:9], off
	s_add_i32 s11, s11, 8
	s_waitcnt vmcnt(0)
	scratch_store_dwordx2 off, v[4:5], s10
	s_add_i32 s10, s10, 8
	s_or_b64 s[8:9], vcc, s[8:9]
	s_andn2_b64 exec, exec, s[8:9]
	s_cbranch_execnz .LBB7_86
; %bb.87:                               ;   in Loop: Header=BB7_15 Depth=1
	s_or_b64 exec, exec, s[8:9]
	v_cmp_ne_u32_e32 vcc, v40, v90
	s_orn2_b64 s[8:9], vcc, exec
.LBB7_88:                               ;   in Loop: Header=BB7_15 Depth=1
	s_or_b64 exec, exec, s[2:3]
	v_readlane_b32 s16, v79, 30
	s_and_b64 s[2:3], exec, s[8:9]
	v_readlane_b32 s17, v79, 31
	v_readlane_b32 s18, v79, 32
	;; [unrolled: 1-line block ×7, first 2 shown]
	s_mov_b64 exec, s[2:3]
	s_cbranch_execz .LBB7_91
; %bb.89:                               ;   in Loop: Header=BB7_15 Depth=1
	v_lshlrev_b32_e32 v0, 2, v90
	v_add_u32_e32 v3, 0xc20, v0
	v_add_u32_e32 v4, 0x820, v0
	v_lshlrev_b64 v[0:1], 2, v[90:91]
	v_readlane_b32 s8, v79, 22
	v_lshl_add_u64 v[0:1], v[104:105], 2, v[0:1]
	v_readlane_b32 s10, v79, 24
	v_readlane_b32 s11, v79, 25
	v_sub_u32_e32 v2, v40, v90
	s_mov_b64 s[2:3], 0
	v_lshl_add_u64 v[0:1], s[10:11], 0, v[0:1]
	v_readlane_b32 s9, v79, 23
	v_readlane_b32 s12, v79, 26
	;; [unrolled: 1-line block ×5, first 2 shown]
.LBB7_90:                               ;   Parent Loop BB7_15 Depth=1
                                        ; =>  This Inner Loop Header: Depth=2
	global_load_dword v8, v[0:1], off
	v_add_u32_e32 v2, -1, v2
	v_cmp_eq_u32_e32 vcc, 0, v2
	v_lshl_add_u64 v[0:1], v[0:1], 0, 4
	s_or_b64 s[2:3], vcc, s[2:3]
	s_waitcnt vmcnt(0)
	v_ashrrev_i32_e32 v9, 31, v8
	v_lshl_add_u64 v[10:11], v[8:9], 2, s[16:17]
	global_load_dword v5, v[10:11], off
	s_nop 0
	scratch_store_dword v4, v8, off
	v_add_u32_e32 v4, 4, v4
	s_waitcnt vmcnt(1)
	scratch_store_dword v3, v5, off
	v_add_u32_e32 v3, 4, v3
	s_andn2_b64 exec, exec, s[2:3]
	s_cbranch_execnz .LBB7_90
.LBB7_91:                               ;   in Loop: Header=BB7_15 Depth=1
	s_or_b64 exec, exec, s[0:1]
	v_readlane_b32 s2, v78, 53
	v_readlane_b32 s10, v78, 55
	;; [unrolled: 1-line block ×4, first 2 shown]
	v_cmp_lt_i32_e32 vcc, v40, v6
	s_mov_b64 s[20:21], -1
	v_mov_b32_e32 v0, 0
	s_mov_b64 s[0:1], 0
	v_readlane_b32 s3, v78, 54
	v_readlane_b32 s11, v78, 56
	;; [unrolled: 1-line block ×4, first 2 shown]
	s_mov_b64 s[16:17], 0
	s_mov_b64 s[18:19], 0
	s_and_saveexec_b64 s[8:9], vcc
	s_cbranch_execz .LBB7_119
; %bb.92:                               ;   in Loop: Header=BB7_15 Depth=1
	v_mov_b32_e32 v7, 0
	v_mov_b32_e32 v8, v40
                                        ; implicit-def: $sgpr16_sgpr17
                                        ; implicit-def: $sgpr14_sgpr15
                                        ; implicit-def: $sgpr12_sgpr13
                                        ; implicit-def: $sgpr10_sgpr11
                                        ; implicit-def: $sgpr24_sgpr25
                                        ; implicit-def: $sgpr20_sgpr21
                                        ; implicit-def: $sgpr22_sgpr23
                                        ; implicit-def: $sgpr26_sgpr27
                                        ; implicit-def: $sgpr28_sgpr29
	s_branch .LBB7_98
.LBB7_93:                               ;   in Loop: Header=BB7_98 Depth=2
	s_or_b64 exec, exec, s[48:49]
	s_andn2_b64 s[40:41], s[40:41], exec
	s_and_b64 s[46:47], s[46:47], exec
	s_or_b64 s[40:41], s[40:41], s[46:47]
	s_andn2_b64 s[36:37], s[36:37], exec
	s_orn2_b64 s[46:47], s[44:45], exec
.LBB7_94:                               ;   in Loop: Header=BB7_98 Depth=2
	s_or_b64 exec, exec, s[42:43]
	s_andn2_b64 s[2:3], s[2:3], exec
	s_and_b64 s[40:41], s[40:41], exec
	s_andn2_b64 s[0:1], s[0:1], exec
	s_and_b64 s[36:37], s[36:37], exec
	s_or_b64 s[2:3], s[2:3], s[40:41]
	s_or_b64 s[0:1], s[0:1], s[36:37]
	s_orn2_b64 s[36:37], s[46:47], exec
.LBB7_95:                               ;   in Loop: Header=BB7_98 Depth=2
	s_or_b64 exec, exec, s[38:39]
	s_and_b64 s[2:3], s[2:3], exec
	s_orn2_b64 s[38:39], s[0:1], exec
	s_orn2_b64 s[0:1], s[36:37], exec
.LBB7_96:                               ;   in Loop: Header=BB7_98 Depth=2
	s_or_b64 exec, exec, s[34:35]
	s_andn2_b64 s[28:29], s[28:29], exec
	s_and_b64 s[2:3], s[2:3], exec
	s_or_b64 s[28:29], s[28:29], s[2:3]
	s_andn2_b64 s[2:3], s[26:27], exec
	s_and_b64 s[26:27], s[38:39], exec
	s_or_b64 s[26:27], s[2:3], s[26:27]
	s_andn2_b64 s[2:3], s[24:25], exec
	s_and_b64 s[0:1], s[0:1], exec
	s_andn2_b64 s[22:23], s[22:23], exec
	s_or_b64 s[20:21], s[20:21], exec
	s_or_b64 s[24:25], s[2:3], s[0:1]
.LBB7_97:                               ;   in Loop: Header=BB7_98 Depth=2
	s_or_b64 exec, exec, s[30:31]
	s_xor_b64 s[0:1], s[28:29], -1
	s_xor_b64 s[2:3], s[26:27], -1
	s_and_b64 s[30:31], exec, s[24:25]
	s_or_b64 s[18:19], s[30:31], s[18:19]
	s_andn2_b64 s[10:11], s[10:11], exec
	s_and_b64 s[30:31], s[22:23], exec
	s_andn2_b64 s[14:15], s[14:15], exec
	s_and_b64 s[0:1], s[0:1], exec
	s_or_b64 s[10:11], s[10:11], s[30:31]
	s_andn2_b64 s[12:13], s[12:13], exec
	s_and_b64 s[30:31], s[20:21], exec
	s_or_b64 s[14:15], s[14:15], s[0:1]
	;; [unrolled: 3-line block ×3, first 2 shown]
	s_or_b64 s[16:17], s[0:1], s[2:3]
	s_andn2_b64 exec, exec, s[18:19]
	s_cbranch_execz .LBB7_116
.LBB7_98:                               ;   Parent Loop BB7_15 Depth=1
                                        ; =>  This Loop Header: Depth=2
                                        ;       Child Loop BB7_104 Depth 3
	v_lshlrev_b32_e32 v0, 3, v8
	s_mov_b32 s0, 0x9058
	v_add3_u32 v0, s0, v0, 8
	scratch_load_dwordx2 v[0:1], v0, off
	s_andn2_b64 s[28:29], s[28:29], exec
	s_or_b64 s[26:27], s[26:27], exec
	s_or_b64 s[22:23], s[22:23], exec
	s_andn2_b64 s[20:21], s[20:21], exec
	s_or_b64 s[24:25], s[24:25], exec
	s_waitcnt vmcnt(0)
	v_lshrrev_b32_e32 v2, 1, v0
	v_cmp_gt_i32_e32 vcc, v2, v1
	s_and_saveexec_b64 s[30:31], vcc
	s_cbranch_execz .LBB7_97
; %bb.99:                               ;   in Loop: Header=BB7_98 Depth=2
	v_ashrrev_i32_e32 v9, 1, v1
	v_lshrrev_b32_e32 v2, 2, v0
	v_max_i32_e32 v3, v2, v9
	v_cmp_lt_i32_e32 vcc, v3, v8
	s_mov_b64 s[0:1], -1
	s_mov_b64 s[2:3], 0
	s_mov_b64 s[38:39], -1
	s_and_saveexec_b64 s[34:35], vcc
	s_cbranch_execz .LBB7_96
; %bb.100:                              ;   in Loop: Header=BB7_98 Depth=2
	v_lshl_add_u32 v3, v9, 2, v44
	v_lshlrev_b32_e32 v10, 2, v2
	scratch_load_dword v3, v3, off
	s_nop 0
	scratch_load_dword v2, v10, off offset:2080
	v_mov_b32_e32 v4, -1
	s_mov_b64 s[36:37], -1
	s_mov_b64 s[40:41], -1
	s_waitcnt vmcnt(1)
	v_cmp_ne_u32_e32 vcc, -1, v3
	s_waitcnt vmcnt(0)
	v_cmp_ne_u32_e64 s[0:1], -1, v2
	s_and_b64 s[42:43], vcc, s[0:1]
	s_mov_b64 s[0:1], -1
	s_and_saveexec_b64 s[38:39], s[42:43]
	s_cbranch_execz .LBB7_110
; %bb.101:                              ;   in Loop: Header=BB7_98 Depth=2
	v_and_b32_e32 v1, 1, v1
	v_bfe_u32 v0, v0, 1, 1
	v_lshl_or_b32 v3, v3, 1, v1
	v_lshl_or_b32 v0, v2, 1, v0
	v_min_i32_e32 v1, v3, v0
	v_max_i32_e32 v0, v3, v0
	v_lshrrev_b32_e32 v2, 1, v1
	v_xor_b32_e32 v2, v0, v2
	s_mov_b32 s0, 0xff51afd7
	s_mov_b32 s2, 0xed558ccd
	v_readlane_b32 s46, v79, 10
	v_mul_lo_u32 v4, v2, s0
	v_mad_u64_u32 v[2:3], s[0:1], v2, s2, 0
	v_mul_lo_u32 v5, v1, s2
	v_readlane_b32 s47, v79, 11
	v_add3_u32 v3, v3, v4, v5
	v_cvt_f32_u32_e32 v5, s46
	v_cvt_f32_u32_e32 v11, s47
	v_lshrrev_b32_e32 v4, 1, v3
	v_xor_b32_e32 v2, v4, v2
	s_mov_b32 s0, 0x1a85ec53
	v_fmac_f32_e32 v5, 0x4f800000, v11
	s_mov_b32 s1, 0xc4ceb9fe
	v_rcp_f32_e32 v5, v5
	v_mul_lo_u32 v4, v3, s0
	v_mul_lo_u32 v12, v2, s1
	v_mad_u64_u32 v[2:3], s[0:1], v2, s0, 0
	v_add3_u32 v11, v3, v12, v4
	v_lshrrev_b32_e32 v3, 1, v11
	v_xor_b32_e32 v14, v3, v2
	v_mul_f32_e32 v2, 0x5f7ffffc, v5
	v_mul_f32_e32 v3, 0x2f800000, v2
	v_trunc_f32_e32 v3, v3
	v_fmac_f32_e32 v2, 0xcf800000, v3
	v_cvt_u32_f32_e32 v2, v2
	v_cvt_u32_f32_e32 v3, v3
	s_sub_u32 s2, 0, s46
	s_subb_u32 s3, 0, s47
	v_readfirstlane_b32 s0, v2
	v_readfirstlane_b32 s40, v3
	s_mul_hi_u32 s33, s2, s0
	s_mul_i32 s41, s2, s40
	s_mul_i32 s1, s3, s0
	s_add_i32 s33, s33, s41
	s_add_i32 s33, s33, s1
	s_mul_i32 s42, s2, s0
	s_mul_i32 s41, s0, s33
	s_mul_hi_u32 s43, s0, s42
	s_mul_hi_u32 s1, s0, s33
	s_add_u32 s41, s43, s41
	s_addc_u32 s1, 0, s1
	s_mul_hi_u32 s44, s40, s42
	s_mul_i32 s42, s40, s42
	s_add_u32 s41, s41, s42
	s_mul_hi_u32 s43, s40, s33
	s_addc_u32 s1, s1, s44
	s_addc_u32 s41, s43, 0
	s_mul_i32 s33, s40, s33
	s_add_u32 s1, s1, s33
	s_addc_u32 s33, 0, s41
	s_add_u32 s41, s0, s1
	s_cselect_b64 s[0:1], -1, 0
	s_cmp_lg_u64 s[0:1], 0
	s_addc_u32 s33, s40, s33
	s_mul_i32 s0, s2, s33
	s_mul_hi_u32 s1, s2, s41
	s_add_i32 s0, s1, s0
	s_mul_i32 s3, s3, s41
	s_add_i32 s0, s0, s3
	s_mul_i32 s2, s2, s41
	s_mul_hi_u32 s3, s33, s2
	s_mul_i32 s40, s33, s2
	s_mul_i32 s43, s41, s0
	s_mul_hi_u32 s2, s41, s2
	s_mul_hi_u32 s42, s41, s0
	s_add_u32 s2, s2, s43
	s_addc_u32 s42, 0, s42
	s_add_u32 s2, s2, s40
	s_mul_hi_u32 s1, s33, s0
	s_addc_u32 s2, s42, s3
	s_addc_u32 s1, s1, 0
	s_mul_i32 s0, s33, s0
	s_add_u32 s0, s2, s0
	s_addc_u32 s2, 0, s1
	s_add_u32 s3, s41, s0
	s_cselect_b64 s[0:1], -1, 0
	s_cmp_lg_u64 s[0:1], 0
	s_addc_u32 s2, s33, s2
	v_mad_u64_u32 v[2:3], s[0:1], v14, s2, 0
	v_mul_hi_u32 v90, v14, s3
	v_lshl_add_u64 v[2:3], v[90:91], 0, v[2:3]
	v_mad_u64_u32 v[12:13], s[0:1], v11, s3, 0
	v_add_co_u32_e32 v2, vcc, v2, v12
	v_mad_u64_u32 v[4:5], s[0:1], v11, s2, 0
	s_nop 0
	v_addc_co_u32_e32 v90, vcc, v3, v13, vcc
	s_nop 1
	v_addc_co_u32_e32 v5, vcc, 0, v5, vcc
	v_lshl_add_u64 v[2:3], v[90:91], 0, v[4:5]
	v_mul_lo_u32 v4, s47, v2
	v_mul_lo_u32 v5, s46, v3
	v_mad_u64_u32 v[2:3], s[0:1], s46, v2, 0
	v_add3_u32 v3, v3, v5, v4
	v_sub_u32_e32 v4, v11, v3
	v_mov_b32_e32 v5, s47
	v_sub_co_u32_e32 v2, vcc, v14, v2
	s_nop 1
	v_subb_co_u32_e64 v4, s[0:1], v4, v5, vcc
	v_subrev_co_u32_e64 v12, s[0:1], s46, v2
	v_subb_co_u32_e32 v3, vcc, v11, v3, vcc
	s_nop 0
	v_subbrev_co_u32_e64 v13, s[2:3], 0, v4, s[0:1]
	v_cmp_le_u32_e64 s[2:3], s47, v13
	v_subb_co_u32_e64 v4, s[0:1], v4, v5, s[0:1]
	s_nop 0
	v_cndmask_b32_e64 v14, 0, -1, s[2:3]
	v_cmp_le_u32_e64 s[2:3], s46, v12
	v_subrev_co_u32_e64 v5, s[0:1], s46, v12
	s_nop 0
	v_cndmask_b32_e64 v15, 0, -1, s[2:3]
	v_cmp_eq_u32_e64 s[2:3], s47, v13
	v_subbrev_co_u32_e64 v4, s[0:1], 0, v4, s[0:1]
	s_nop 0
	v_cndmask_b32_e64 v14, v14, v15, s[2:3]
	v_cmp_le_u32_e32 vcc, s47, v3
	v_cmp_ne_u32_e64 s[0:1], 0, v14
	s_nop 0
	v_cndmask_b32_e64 v11, 0, -1, vcc
	v_cmp_le_u32_e32 vcc, s46, v2
	v_cndmask_b32_e64 v4, v13, v4, s[0:1]
	s_nop 0
	v_cndmask_b32_e64 v13, 0, -1, vcc
	v_cmp_eq_u32_e32 vcc, s47, v3
	s_nop 1
	v_cndmask_b32_e32 v11, v11, v13, vcc
	v_cmp_ne_u32_e32 vcc, 0, v11
	s_nop 1
	v_cndmask_b32_e32 v3, v3, v4, vcc
	v_cndmask_b32_e64 v4, v12, v5, s[0:1]
	v_readlane_b32 s0, v79, 6
	v_cndmask_b32_e32 v2, v2, v4, vcc
	v_readlane_b32 s1, v79, 7
	v_readlane_b32 s2, v79, 8
	v_readlane_b32 s3, v79, 9
	v_lshl_add_u64 v[4:5], v[2:3], 3, s[0:1]
	global_load_dwordx2 v[4:5], v[4:5], off
	s_mov_b64 s[2:3], -1
	s_waitcnt vmcnt(0)
	v_cmp_ne_u64_e32 vcc, v[4:5], v[0:1]
	s_and_saveexec_b64 s[0:1], vcc
	s_cbranch_execz .LBB7_107
; %bb.102:                              ;   in Loop: Header=BB7_98 Depth=2
	s_mov_b64 s[2:3], 0
                                        ; implicit-def: $sgpr40_sgpr41
                                        ; implicit-def: $sgpr44_sgpr45
                                        ; implicit-def: $sgpr42_sgpr43
	s_branch .LBB7_104
.LBB7_103:                              ;   in Loop: Header=BB7_104 Depth=3
	s_or_b64 exec, exec, s[46:47]
	s_xor_b64 s[46:47], s[42:43], -1
	s_and_b64 s[48:49], exec, s[44:45]
	s_or_b64 s[2:3], s[48:49], s[2:3]
	s_andn2_b64 s[40:41], s[40:41], exec
	s_and_b64 s[46:47], s[46:47], exec
	s_or_b64 s[40:41], s[40:41], s[46:47]
	s_andn2_b64 exec, exec, s[2:3]
	s_cbranch_execz .LBB7_106
.LBB7_104:                              ;   Parent Loop BB7_15 Depth=1
                                        ;     Parent Loop BB7_98 Depth=2
                                        ; =>    This Inner Loop Header: Depth=3
	v_cmp_ne_u64_e32 vcc, -1, v[4:5]
	s_or_b64 s[42:43], s[42:43], exec
	s_or_b64 s[44:45], s[44:45], exec
                                        ; implicit-def: $vgpr4_vgpr5
	s_and_saveexec_b64 s[46:47], vcc
	s_cbranch_execz .LBB7_103
; %bb.105:                              ;   in Loop: Header=BB7_104 Depth=3
	v_readlane_b32 s48, v79, 10
	v_lshl_add_u64 v[2:3], v[2:3], 0, 1
	v_readlane_b32 s49, v79, 11
	s_andn2_b64 s[44:45], s[44:45], exec
	s_andn2_b64 s[42:43], s[42:43], exec
	v_cmp_ne_u64_e32 vcc, s[48:49], v[2:3]
	v_readlane_b32 s48, v79, 6
	v_readlane_b32 s49, v79, 7
	v_cndmask_b32_e32 v3, 0, v3, vcc
	v_cndmask_b32_e32 v2, 0, v2, vcc
	v_lshl_add_u64 v[4:5], v[2:3], 3, s[48:49]
	global_load_dwordx2 v[4:5], v[4:5], off
	v_readlane_b32 s50, v79, 8
	v_readlane_b32 s51, v79, 9
	s_waitcnt vmcnt(0)
	v_cmp_eq_u64_e32 vcc, v[4:5], v[0:1]
	s_and_b64 s[48:49], vcc, exec
	s_or_b64 s[44:45], s[44:45], s[48:49]
	s_branch .LBB7_103
.LBB7_106:                              ;   in Loop: Header=BB7_98 Depth=2
	s_or_b64 exec, exec, s[2:3]
	s_orn2_b64 s[2:3], s[40:41], exec
.LBB7_107:                              ;   in Loop: Header=BB7_98 Depth=2
	s_or_b64 exec, exec, s[0:1]
	v_mov_b32_e32 v4, -1
	s_and_saveexec_b64 s[0:1], s[2:3]
	s_cbranch_execz .LBB7_109
; %bb.108:                              ;   in Loop: Header=BB7_98 Depth=2
	v_readlane_b32 s40, v79, 6
	v_readlane_b32 s42, v79, 8
	;; [unrolled: 1-line block ×4, first 2 shown]
	s_nop 0
	v_lshl_add_u64 v[0:1], v[2:3], 2, s[42:43]
	global_load_dword v4, v[0:1], off
.LBB7_109:                              ;   in Loop: Header=BB7_98 Depth=2
	s_or_b64 exec, exec, s[0:1]
	s_waitcnt vmcnt(0)
	v_cmp_ne_u32_e32 vcc, v4, v94
	s_mov_b64 s[2:3], exec
	s_xor_b64 s[0:1], exec, -1
	s_orn2_b64 s[40:41], vcc, exec
.LBB7_110:                              ;   in Loop: Header=BB7_98 Depth=2
	s_or_b64 exec, exec, s[38:39]
	s_and_saveexec_b64 s[38:39], s[40:41]
	s_cbranch_execz .LBB7_95
; %bb.111:                              ;   in Loop: Header=BB7_98 Depth=2
	v_cmp_ne_u32_e64 s[44:45], -1, v4
	v_cmp_eq_u32_e32 vcc, -1, v4
	s_mov_b64 s[36:37], s[0:1]
	s_mov_b64 s[40:41], s[2:3]
	s_and_saveexec_b64 s[42:43], vcc
; %bb.112:                              ;   in Loop: Header=BB7_98 Depth=2
	v_cmp_lt_i32_e32 vcc, v7, v73
	v_add_u32_e32 v0, 1, v7
	s_andn2_b64 s[44:45], s[44:45], exec
	s_and_b64 s[46:47], vcc, exec
	s_or_b64 s[40:41], s[2:3], exec
	s_andn2_b64 s[36:37], s[0:1], exec
	s_or_b64 s[44:45], s[44:45], s[46:47]
	v_mov_b32_e32 v7, v0
; %bb.113:                              ;   in Loop: Header=BB7_98 Depth=2
	s_or_b64 exec, exec, s[42:43]
	s_mov_b64 s[46:47], -1
	s_and_saveexec_b64 s[42:43], s[44:45]
	s_cbranch_execz .LBB7_94
; %bb.114:                              ;   in Loop: Header=BB7_98 Depth=2
	v_lshl_add_u32 v0, v9, 2, v46
	scratch_load_dword v1, v10, off offset:3104
	scratch_load_dword v2, v0, off
	s_mov_b32 s33, 0x3b9aca00
	v_lshlrev_b32_e32 v0, 2, v8
	s_mov_b64 s[44:45], -1
	s_waitcnt vmcnt(0)
	v_max_i32_e32 v1, v2, v1
	v_add_u32_e32 v2, 1, v1
	v_cmp_gt_i32_e32 vcc, s33, v1
	scratch_store_dword v0, v2, off offset:3104
	s_and_saveexec_b64 s[48:49], vcc
	s_cbranch_execz .LBB7_93
; %bb.115:                              ;   in Loop: Header=BB7_98 Depth=2
	v_add_u32_e32 v8, 1, v8
	v_cmp_ge_i32_e32 vcc, v8, v6
	s_xor_b64 s[46:47], exec, -1
	s_orn2_b64 s[44:45], vcc, exec
	scratch_store_dword v0, v4, off offset:2080
	s_branch .LBB7_93
.LBB7_116:                              ;   in Loop: Header=BB7_15 Depth=1
	s_or_b64 exec, exec, s[18:19]
	s_mov_b64 s[20:21], 0
	v_mov_b32_e32 v0, 0
	s_mov_b64 s[0:1], 0
	s_and_saveexec_b64 s[2:3], s[16:17]
	s_xor_b64 s[2:3], exec, s[2:3]
; %bb.117:                              ;   in Loop: Header=BB7_15 Depth=1
	s_mov_b64 s[0:1], exec
	s_and_b64 s[20:21], s[14:15], exec
	v_mov_b32_e32 v0, v7
; %bb.118:                              ;   in Loop: Header=BB7_15 Depth=1
	s_or_b64 exec, exec, s[2:3]
	v_readlane_b32 s2, v78, 59
	v_readlane_b32 s3, v78, 60
	s_andn2_b64 s[14:15], s[2:3], exec
	v_readlane_b32 s2, v78, 57
	v_readlane_b32 s3, v78, 58
	s_and_b64 s[18:19], s[12:13], exec
	s_andn2_b64 s[12:13], s[2:3], exec
	v_readlane_b32 s2, v78, 55
	v_readlane_b32 s3, v78, 56
	s_and_b64 s[16:17], s[10:11], exec
	s_andn2_b64 s[10:11], s[2:3], exec
	v_readlane_b32 s2, v78, 53
	v_readlane_b32 s3, v78, 54
	s_andn2_b64 s[2:3], s[2:3], exec
	s_and_b64 s[0:1], s[0:1], exec
	s_orn2_b64 s[20:21], s[20:21], exec
.LBB7_119:                              ;   in Loop: Header=BB7_15 Depth=1
	s_or_b64 exec, exec, s[8:9]
	v_mov_b32_e32 v75, -1
	s_and_saveexec_b64 s[8:9], s[20:21]
	s_cbranch_execz .LBB7_121
; %bb.120:                              ;   in Loop: Header=BB7_15 Depth=1
	v_lshl_add_u32 v1, v6, 2, v46
	v_add_u32_e32 v1, -4, v1
	scratch_load_dword v72, v1, off
	s_or_b64 s[0:1], s[0:1], exec
	v_mov_b32_e32 v75, v0
.LBB7_121:                              ;   in Loop: Header=BB7_15 Depth=1
	s_or_b64 exec, exec, s[8:9]
	s_and_b64 s[8:9], s[18:19], exec
	v_writelane_b32 v77, s8, 11
	s_and_b64 s[14:15], s[14:15], exec
	s_and_b64 s[12:13], s[12:13], exec
	v_writelane_b32 v77, s9, 12
	s_and_b64 s[8:9], s[16:17], exec
	v_writelane_b32 v77, s8, 1
	s_and_b64 s[10:11], s[10:11], exec
	s_and_b64 s[2:3], s[2:3], exec
	v_writelane_b32 v77, s9, 2
	v_readlane_b32 s8, v78, 59
	v_readlane_b32 s9, v78, 60
	s_andn2_b64 s[8:9], s[8:9], exec
	s_or_b64 s[8:9], s[8:9], s[14:15]
	v_writelane_b32 v77, s8, 9
	s_and_b64 s[0:1], s[0:1], exec
	s_nop 0
	v_writelane_b32 v77, s9, 10
	v_readlane_b32 s8, v78, 57
	v_readlane_b32 s9, v78, 58
	s_andn2_b64 s[8:9], s[8:9], exec
	s_or_b64 s[8:9], s[8:9], s[12:13]
	v_writelane_b32 v77, s8, 7
	s_nop 1
	v_writelane_b32 v77, s9, 8
	v_readlane_b32 s8, v78, 55
	v_readlane_b32 s9, v78, 56
	s_andn2_b64 s[8:9], s[8:9], exec
	s_or_b64 s[8:9], s[8:9], s[10:11]
	v_writelane_b32 v77, s8, 5
	;; [unrolled: 7-line block ×3, first 2 shown]
	s_nop 1
	v_writelane_b32 v77, s3, 4
	s_andn2_b64 s[2:3], s[4:5], exec
	s_or_b64 s[4:5], s[2:3], s[0:1]
.LBB7_122:                              ;   in Loop: Header=BB7_15 Depth=1
	s_or_b64 exec, exec, s[6:7]
	s_mov_b64 s[2:3], -1
	s_mov_b64 s[0:1], 0
	s_mov_b64 s[6:7], 0
	;; [unrolled: 1-line block ×17, first 2 shown]
	s_mov_b64 s[40:41], exec
	v_writelane_b32 v77, s40, 13
	s_and_b64 s[4:5], s[40:41], s[4:5]
	s_nop 0
	v_writelane_b32 v77, s41, 14
	s_mov_b64 exec, s[4:5]
	s_cbranch_execz .LBB7_8
; %bb.123:                              ;   in Loop: Header=BB7_15 Depth=1
	v_cmp_lt_i32_e32 vcc, 0, v76
	s_and_saveexec_b64 s[0:1], vcc
	s_cbranch_execz .LBB7_131
; %bb.124:                              ;   in Loop: Header=BB7_15 Depth=1
	v_cmp_ne_u32_e32 vcc, 1, v76
	s_and_saveexec_b64 s[2:3], vcc
	s_xor_b64 s[2:3], exec, s[2:3]
	s_cbranch_execz .LBB7_128
; %bb.125:                              ;   in Loop: Header=BB7_15 Depth=1
	v_and_b32_e32 v0, 0x7ffffffe, v76
	v_add_u32_e32 v90, -1, v76
	s_mov_b64 s[4:5], 0
.LBB7_126:                              ;   Parent Loop BB7_15 Depth=1
                                        ; =>  This Inner Loop Header: Depth=2
	v_lshl_add_u64 v[2:3], v[90:91], 2, v[60:61]
	global_load_dwordx2 v[4:5], v[2:3], off offset:-4
	v_add_u32_e32 v0, -2, v0
	v_cmp_eq_u32_e32 vcc, 0, v0
	v_add_u32_e32 v90, -2, v90
	s_or_b64 s[4:5], vcc, s[4:5]
	s_waitcnt vmcnt(0)
	v_xor_b32_e32 v5, -1, v5
	v_xor_b32_e32 v4, -1, v4
	global_store_dwordx2 v[2:3], v[4:5], off offset:-4
	s_andn2_b64 exec, exec, s[4:5]
	s_cbranch_execnz .LBB7_126
; %bb.127:                              ;   in Loop: Header=BB7_15 Depth=1
	s_or_b64 exec, exec, s[4:5]
.LBB7_128:                              ;   in Loop: Header=BB7_15 Depth=1
	s_or_saveexec_b64 s[2:3], s[2:3]
	s_mov_b32 s4, -4
	s_mov_b32 s5, 3
	s_xor_b64 exec, exec, s[2:3]
	s_cbranch_execz .LBB7_131
; %bb.129:                              ;   in Loop: Header=BB7_15 Depth=1
	s_mov_b32 s2, 2
	v_mov_b64_e32 v[0:1], v[60:61]
.LBB7_130:                              ;   Parent Loop BB7_15 Depth=1
                                        ; =>  This Inner Loop Header: Depth=2
	global_load_dword v2, v[0:1], off
	s_add_i32 s2, s2, -1
	s_cmp_lt_u32 s2, 2
	s_waitcnt vmcnt(0)
	v_not_b32_e32 v2, v2
	global_store_dword v[0:1], v2, off
	v_lshl_add_u64 v[0:1], v[0:1], 0, s[4:5]
	s_cbranch_scc0 .LBB7_130
.LBB7_131:                              ;   in Loop: Header=BB7_15 Depth=1
	s_or_b64 exec, exec, s[0:1]
	scratch_load_dword v0, off, s88 offset:44
	s_mov_b64 s[2:3], -1
	s_mov_b64 s[0:1], 0
	s_mov_b64 s[4:5], -1
	s_mov_b64 s[6:7], 0
	s_mov_b64 s[8:9], 0
	;; [unrolled: 1-line block ×15, first 2 shown]
	s_waitcnt vmcnt(0)
	v_cmp_lt_i32_e32 vcc, -1, v0
	s_mov_b64 s[36:37], exec
	v_writelane_b32 v77, s36, 15
	s_nop 1
	v_writelane_b32 v77, s37, 16
	s_and_b64 s[36:37], s[36:37], vcc
	s_mov_b64 exec, s[36:37]
	s_cbranch_execz .LBB7_7
; %bb.132:                              ;   in Loop: Header=BB7_15 Depth=1
	s_add_u32 s8, s84, 0x80
	v_readlane_b32 s2, v79, 4
	s_addc_u32 s9, s85, 0
	v_readlane_b32 s3, v79, 5
	s_getpc_b64 s[0:1]
	s_add_u32 s0, s0, _ZN3sop13minatoIsopRecEPKjS1_iPNS_3SopEP7VecsMemIjLi8192EE@rel32@lo+4
	s_addc_u32 s1, s1, _ZN3sop13minatoIsopRecEPKjS1_iPNS_3SopEP7VecsMemIjLi8192EE@rel32@hi+12
	v_mov_b32_e32 v0, v60
	v_mov_b32_e32 v1, v61
	;; [unrolled: 1-line block ×9, first 2 shown]
	v_writelane_b32 v78, s90, 63
	scratch_store_dword off, v91, s88 offset:44
	s_nop 0
	v_writelane_b32 v77, s91, 0
	s_swappc_b64 s[30:31], s[0:1]
	s_mov_b64 s[0:1], 0
	v_mov_b32_e32 v90, v76
                                        ; implicit-def: $sgpr14_sgpr15
                                        ; implicit-def: $sgpr4_sgpr5
                                        ; implicit-def: $sgpr2_sgpr3
	s_branch .LBB7_134
.LBB7_133:                              ;   in Loop: Header=BB7_134 Depth=2
	s_or_b64 exec, exec, s[6:7]
	s_and_b64 s[6:7], exec, s[4:5]
	s_or_b64 s[0:1], s[6:7], s[0:1]
	s_andn2_b64 s[6:7], s[14:15], exec
	s_and_b64 s[8:9], s[2:3], exec
	s_or_b64 s[14:15], s[6:7], s[8:9]
	s_andn2_b64 exec, exec, s[0:1]
	s_cbranch_execz .LBB7_136
.LBB7_134:                              ;   Parent Loop BB7_15 Depth=1
                                        ; =>  This Inner Loop Header: Depth=2
	v_cmp_lt_i32_e32 vcc, 0, v90
	s_or_b64 s[2:3], s[2:3], exec
	s_or_b64 s[4:5], s[4:5], exec
	s_and_saveexec_b64 s[6:7], vcc
	s_cbranch_execz .LBB7_133
; %bb.135:                              ;   in Loop: Header=BB7_134 Depth=2
	v_add_u32_e32 v90, -1, v90
	v_lshlrev_b64 v[2:3], 2, v[90:91]
	v_lshl_add_u64 v[4:5], v[60:61], 0, v[2:3]
	v_lshl_add_u64 v[2:3], v[0:1], 0, v[2:3]
	global_load_dword v4, v[4:5], off
	s_andn2_b64 s[4:5], s[4:5], exec
	flat_load_dword v2, v[2:3]
	s_andn2_b64 s[2:3], s[2:3], exec
	s_waitcnt vmcnt(0) lgkmcnt(0)
	v_cmp_ne_u32_e32 vcc, v4, v2
	s_and_b64 s[8:9], vcc, exec
	s_or_b64 s[4:5], s[4:5], s[8:9]
	s_branch .LBB7_133
.LBB7_136:                              ;   in Loop: Header=BB7_15 Depth=1
	s_or_b64 exec, exec, s[0:1]
	s_mov_b64 s[0:1], 0
	s_mov_b64 s[2:3], -1
	s_mov_b64 s[4:5], 0
	s_mov_b64 s[6:7], 0
	;; [unrolled: 1-line block ×14, first 2 shown]
	s_mov_b64 s[40:41], -1
	s_and_saveexec_b64 s[26:27], s[14:15]
	s_xor_b64 s[26:27], exec, s[26:27]
	v_writelane_b32 v77, s26, 17
	v_readlane_b32 s84, v79, 38
	v_readlane_b32 s86, v78, 39
	v_writelane_b32 v77, s27, 18
	v_readlane_b32 s90, v78, 63
	v_readlane_b32 s85, v79, 39
	;; [unrolled: 1-line block ×5, first 2 shown]
	s_cbranch_execz .LBB7_6
; %bb.137:                              ;   in Loop: Header=BB7_15 Depth=1
	scratch_load_dword v2, off, off offset:2068
	s_waitcnt vmcnt(0)
	v_cmp_lt_i32_e32 vcc, 0, v2
	s_and_saveexec_b64 s[2:3], vcc
	s_xor_b64 s[2:3], exec, s[2:3]
	s_cbranch_execz .LBB7_141
; %bb.138:                              ;   in Loop: Header=BB7_15 Depth=1
	v_cmp_eq_u32_e32 vcc, 1, v2
	s_mov_b64 s[4:5], -1
	s_and_saveexec_b64 s[8:9], vcc
	s_cbranch_execz .LBB7_140
; %bb.139:                              ;   in Loop: Header=BB7_15 Depth=1
	scratch_load_dwordx2 v[0:1], off, off offset:2072
	s_waitcnt vmcnt(0)
	flat_load_dword v0, v[0:1]
	s_waitcnt vmcnt(0) lgkmcnt(0)
	v_cmp_eq_u32_e32 vcc, 0, v0
	v_cmp_ne_u32_e64 s[0:1], 0, v0
	s_and_b64 s[6:7], vcc, exec
	s_orn2_b64 s[4:5], s[0:1], exec
.LBB7_140:                              ;   in Loop: Header=BB7_15 Depth=1
	s_or_b64 exec, exec, s[8:9]
	s_and_b64 s[0:1], s[6:7], exec
	s_and_b64 s[6:7], s[4:5], exec
.LBB7_141:                              ;   in Loop: Header=BB7_15 Depth=1
	s_andn2_saveexec_b64 s[2:3], s[2:3]
; %bb.142:                              ;   in Loop: Header=BB7_15 Depth=1
	v_cmp_ne_u32_e32 vcc, 0, v2
	s_andn2_b64 s[4:5], s[6:7], exec
	s_and_b64 s[6:7], vcc, exec
	s_or_b64 s[0:1], s[0:1], exec
	s_or_b64 s[6:7], s[4:5], s[6:7]
; %bb.143:                              ;   in Loop: Header=BB7_15 Depth=1
	s_or_b64 exec, exec, s[2:3]
	s_mov_b64 s[2:3], 0
	v_writelane_b32 v77, s2, 19
	s_mov_b64 s[4:5], 0
	s_nop 0
	v_writelane_b32 v77, s3, 20
	s_mov_b64 s[2:3], -1
	v_writelane_b32 v77, s2, 21
	s_nop 1
	v_writelane_b32 v77, s3, 22
	s_mov_b64 s[2:3], 0
	v_writelane_b32 v77, s2, 23
	s_nop 1
	v_writelane_b32 v77, s3, 24
	s_and_saveexec_b64 s[2:3], s[6:7]
	s_cbranch_execz .LBB7_158
; %bb.144:                              ;   in Loop: Header=BB7_15 Depth=1
	v_cmp_lt_i32_e32 vcc, 0, v2
	v_mov_b32_e32 v3, -1
	s_mov_b64 s[16:17], -1
	s_mov_b64 s[6:7], -1
	s_and_saveexec_b64 s[8:9], vcc
	s_cbranch_execz .LBB7_148
; %bb.145:                              ;   in Loop: Header=BB7_15 Depth=1
	scratch_load_dword v0, off, s88 offset:44
	s_movk_i32 s4, 0x2001
	v_mov_b32_e32 v3, -1
	s_waitcnt vmcnt(0)
	v_add_u32_e32 v1, v0, v2
	v_cmp_gt_i32_e32 vcc, s4, v1
	s_and_saveexec_b64 s[4:5], vcc
	s_cbranch_execz .LBB7_147
; %bb.146:                              ;   in Loop: Header=BB7_15 Depth=1
	v_lshlrev_b32_e32 v0, 2, v0
	s_movk_i32 s6, 0x1050
	s_mov_b64 s[12:13], exec
	v_add3_u32 v3, s6, v0, 4
	scratch_store_dword off, v1, s88 offset:44
.LBB7_147:                              ;   in Loop: Header=BB7_15 Depth=1
	s_or_b64 exec, exec, s[4:5]
	s_mov_b64 s[4:5], exec
	s_xor_b64 s[6:7], exec, -1
	s_orn2_b64 s[16:17], s[12:13], exec
.LBB7_148:                              ;   in Loop: Header=BB7_15 Depth=1
	s_or_b64 exec, exec, s[8:9]
	s_mov_b64 s[12:13], 0
	s_mov_b64 s[14:15], 0
	s_and_saveexec_b64 s[8:9], s[16:17]
	s_cbranch_execz .LBB7_157
; %bb.149:                              ;   in Loop: Header=BB7_15 Depth=1
	v_cmp_ne_u32_e32 vcc, -1, v3
	s_mov_b64 s[12:13], -1
	s_mov_b64 s[16:17], 0
	s_and_saveexec_b64 s[10:11], vcc
	s_cbranch_execz .LBB7_156
; %bb.150:                              ;   in Loop: Header=BB7_15 Depth=1
	v_cmp_lt_i32_e32 vcc, 0, v2
	s_and_saveexec_b64 s[12:13], vcc
	s_cbranch_execz .LBB7_155
; %bb.151:                              ;   in Loop: Header=BB7_15 Depth=1
	scratch_load_dwordx2 v[0:1], off, off offset:2072
	v_mov_b32_e32 v4, v2
	v_mov_b32_e32 v5, v3
.LBB7_152:                              ;   Parent Loop BB7_15 Depth=1
                                        ; =>  This Inner Loop Header: Depth=2
	s_waitcnt vmcnt(0)
	flat_load_dword v6, v[0:1]
	v_add_u32_e32 v4, -1, v4
	v_cmp_eq_u32_e32 vcc, 0, v4
	v_lshl_add_u64 v[0:1], v[0:1], 0, 4
	s_or_b64 s[14:15], vcc, s[14:15]
	s_waitcnt vmcnt(0) lgkmcnt(0)
	scratch_store_dword v5, v6, off
	v_add_u32_e32 v5, 4, v5
	s_andn2_b64 exec, exec, s[14:15]
	s_cbranch_execnz .LBB7_152
; %bb.153:                              ;   in Loop: Header=BB7_15 Depth=1
	s_or_b64 exec, exec, s[14:15]
	s_mov_b64 s[14:15], 0
	v_mov_b32_e32 v0, v2
	v_readlane_b32 s16, v79, 13
.LBB7_154:                              ;   Parent Loop BB7_15 Depth=1
                                        ; =>  This Inner Loop Header: Depth=2
	scratch_load_dword v1, v3, off
	v_add_u32_e32 v0, -1, v0
	v_cmp_eq_u32_e32 vcc, 0, v0
	v_add_u32_e32 v3, 4, v3
	s_waitcnt vmcnt(0)
	scratch_store_dword off, v1, s16
	s_add_i32 s16, s16, 4
	s_or_b64 s[14:15], vcc, s[14:15]
	s_andn2_b64 exec, exec, s[14:15]
	s_cbranch_execnz .LBB7_154
.LBB7_155:                              ;   in Loop: Header=BB7_15 Depth=1
	s_or_b64 exec, exec, s[12:13]
	scratch_load_dword v0, off, s88 offset:44
	s_mov_b64 s[14:15], exec
	s_xor_b64 s[12:13], exec, -1
	s_waitcnt vmcnt(0)
	v_cmp_ge_i32_e32 vcc, v0, v2
	s_and_b64 s[16:17], vcc, exec
.LBB7_156:                              ;   in Loop: Header=BB7_15 Depth=1
	s_or_b64 exec, exec, s[10:11]
	s_andn2_b64 s[6:7], s[6:7], exec
	s_and_b64 s[14:15], s[14:15], exec
	s_and_b64 s[12:13], s[12:13], exec
	s_andn2_b64 s[4:5], s[4:5], exec
	s_and_b64 s[10:11], s[16:17], exec
.LBB7_157:                              ;   in Loop: Header=BB7_15 Depth=1
	s_or_b64 exec, exec, s[8:9]
	s_orn2_b64 s[6:7], s[6:7], exec
	v_writelane_b32 v77, s6, 21
	s_andn2_b64 s[0:1], s[0:1], exec
	s_nop 0
	v_writelane_b32 v77, s7, 22
	s_and_b64 s[6:7], s[14:15], exec
	v_writelane_b32 v77, s6, 23
	s_nop 1
	v_writelane_b32 v77, s7, 24
	s_and_b64 s[6:7], s[12:13], exec
	s_and_b64 s[12:13], s[4:5], exec
	;; [unrolled: 1-line block ×3, first 2 shown]
	s_mov_b64 s[10:11], s[6:7]
.LBB7_158:                              ;   in Loop: Header=BB7_15 Depth=1
	s_or_b64 exec, exec, s[2:3]
	s_and_saveexec_b64 s[2:3], s[0:1]
	s_cbranch_execz .LBB7_160
; %bb.159:                              ;   in Loop: Header=BB7_15 Depth=1
	scratch_load_dword v0, off, s88 offset:44
	s_mov_b64 s[0:1], exec
	v_writelane_b32 v77, s0, 19
	s_andn2_b64 s[10:11], s[10:11], exec
	s_andn2_b64 s[12:13], s[12:13], exec
	v_writelane_b32 v77, s1, 20
	scratch_store_dword off, v91, s88 offset:48
	v_readlane_b32 s0, v77, 21
	v_readlane_b32 s1, v77, 22
	s_andn2_b64 s[0:1], s[0:1], exec
	v_writelane_b32 v77, s0, 21
	s_waitcnt vmcnt(1)
	v_cmp_ge_i32_e32 vcc, v0, v2
	v_writelane_b32 v77, s1, 22
	s_nop 0
	v_readlane_b32 s0, v77, 23
	v_readlane_b32 s1, v77, 24
	s_andn2_b64 s[0:1], s[0:1], exec
	v_writelane_b32 v77, s0, 23
	s_nop 1
	v_writelane_b32 v77, s1, 24
	s_andn2_b64 s[0:1], s[4:5], exec
	s_and_b64 s[4:5], vcc, exec
	s_or_b64 s[4:5], s[0:1], s[4:5]
.LBB7_160:                              ;   in Loop: Header=BB7_15 Depth=1
	s_or_b64 exec, exec, s[2:3]
	s_mov_b64 s[2:3], -1
	s_mov_b64 s[0:1], 0
	s_mov_b64 s[14:15], 0
	;; [unrolled: 1-line block ×11, first 2 shown]
	s_mov_b64 s[6:7], exec
	v_writelane_b32 v77, s6, 25
	s_and_b64 s[4:5], s[6:7], s[4:5]
	s_nop 0
	v_writelane_b32 v77, s7, 26
	s_mov_b64 exec, s[4:5]
	s_cbranch_execz .LBB7_5
; %bb.161:                              ;   in Loop: Header=BB7_15 Depth=1
	s_mov_b32 s0, 0x9058
	scratch_store_dword off, v40, s0 offset:2056
	v_cmp_lt_i32_e32 vcc, 0, v2
	s_mov_b64 s[0:1], 0
	s_mov_b64 s[98:99], 0
	scratch_store_dword off, v2, s88 offset:44
	s_and_saveexec_b64 s[2:3], vcc
	s_xor_b64 s[2:3], exec, s[2:3]
	s_cbranch_execz .LBB7_167
; %bb.162:                              ;   in Loop: Header=BB7_15 Depth=1
	v_cmp_eq_u32_e32 vcc, 1, v2
	s_mov_b64 s[0:1], -1
	s_mov_b64 s[6:7], 0
	s_and_saveexec_b64 s[4:5], vcc
	s_cbranch_execz .LBB7_166
; %bb.163:                              ;   in Loop: Header=BB7_15 Depth=1
	scratch_load_dword v0, off, s88 offset:48
	s_mov_b64 s[14:15], s[10:11]
	s_waitcnt vmcnt(0)
	v_cmp_ne_u32_e32 vcc, 0, v0
	v_cmp_eq_u32_e64 s[0:1], 0, v0
	s_and_saveexec_b64 s[8:9], s[0:1]
	s_xor_b64 s[0:1], exec, s[8:9]
	s_cbranch_execz .LBB7_165
; %bb.164:                              ;   in Loop: Header=BB7_15 Depth=1
	s_mov_b32 s8, 0x9058
	scratch_store_dword off, v74, s8 offset:2056
	v_lshlrev_b32_e32 v0, 3, v40
	s_mov_b32 s8, 0x9860
	s_mov_b64 s[6:7], exec
	v_add3_u32 v0, s8, v0, 8
	scratch_store_dwordx2 v0, v[92:93], off
.LBB7_165:                              ;   in Loop: Header=BB7_15 Depth=1
	s_or_b64 exec, exec, s[0:1]
	s_and_b64 s[6:7], s[6:7], exec
	s_orn2_b64 s[0:1], vcc, exec
	s_mov_b64 s[10:11], s[14:15]
.LBB7_166:                              ;   in Loop: Header=BB7_15 Depth=1
	s_or_b64 exec, exec, s[4:5]
	s_and_b64 s[98:99], s[6:7], exec
	s_and_b64 s[0:1], s[0:1], exec
.LBB7_167:                              ;   in Loop: Header=BB7_15 Depth=1
	s_andn2_saveexec_b64 s[2:3], s[2:3]
; %bb.168:                              ;   in Loop: Header=BB7_15 Depth=1
	v_cmp_ne_u32_e32 vcc, 0, v2
	s_andn2_b64 s[0:1], s[0:1], exec
	s_and_b64 s[4:5], vcc, exec
	s_mov_b64 s[28:29], exec
	s_or_b64 s[0:1], s[0:1], s[4:5]
; %bb.169:                              ;   in Loop: Header=BB7_15 Depth=1
	s_or_b64 exec, exec, s[2:3]
	v_writelane_b32 v77, s12, 27
	s_mov_b64 s[6:7], s[12:13]
	s_mov_b64 s[4:5], 0
	v_writelane_b32 v77, s13, 28
	v_writelane_b32 v77, s10, 29
	s_mov_b64 s[8:9], s[10:11]
	s_mov_b64 s[14:15], 0
	v_writelane_b32 v77, s11, 30
	v_mov_b32_e32 v6, v74
	v_readlane_b32 s10, v77, 23
	v_readlane_b32 s12, v77, 19
	;; [unrolled: 1-line block ×6, first 2 shown]
	s_and_saveexec_b64 s[30:31], s[0:1]
	s_cbranch_execz .LBB7_191
; %bb.170:                              ;   in Loop: Header=BB7_15 Depth=1
	v_readlane_b32 s8, v77, 27
	v_readlane_b32 s0, v77, 19
	v_readlane_b32 s9, v77, 28
	v_readlane_b32 s24, v77, 29
	v_readlane_b32 s38, v77, 23
	v_readlane_b32 s1, v77, 20
	v_readlane_b32 s44, v77, 21
	v_cmp_lt_i32_e32 vcc, 0, v2
	s_mov_b64 s[2:3], -1
	v_mov_b32_e32 v0, -1
	s_mov_b64 s[10:11], 0
	s_mov_b64 s[22:23], s[8:9]
	v_readlane_b32 s25, v77, 30
	v_readlane_b32 s39, v77, 24
	s_mov_b64 s[12:13], s[0:1]
	v_readlane_b32 s45, v77, 22
	scratch_store_dword off, v91, s88 offset:16
	s_and_saveexec_b64 s[0:1], vcc
	s_cbranch_execz .LBB7_174
; %bb.171:                              ;   in Loop: Header=BB7_15 Depth=1
	s_movk_i32 s2, 0x1001
	v_cmp_gt_u32_e32 vcc, s2, v2
	s_mov_b64 s[2:3], 0
	v_mov_b32_e32 v0, -1
	s_and_saveexec_b64 s[4:5], vcc
	s_cbranch_execz .LBB7_173
; %bb.172:                              ;   in Loop: Header=BB7_15 Depth=1
	v_lshlrev_b32_e32 v0, 1, v2
	scratch_store_dword off, v0, s88 offset:44
	v_lshl_add_u32 v0, v2, 3, v43
	v_lshlrev_b32_e32 v1, 2, v2
	v_sub_u32_e32 v0, v0, v1
	s_mov_b64 s[2:3], exec
	v_add_u32_e32 v0, 4, v0
.LBB7_173:                              ;   in Loop: Header=BB7_15 Depth=1
	s_or_b64 exec, exec, s[4:5]
	v_readlane_b32 s4, v77, 21
	v_readlane_b32 s5, v77, 22
	s_andn2_b64 s[44:45], s[4:5], exec
	v_readlane_b32 s4, v77, 19
	v_readlane_b32 s5, v77, 20
	s_andn2_b64 s[12:13], s[4:5], exec
	;; [unrolled: 3-line block ×3, first 2 shown]
	v_readlane_b32 s4, v77, 29
	v_readlane_b32 s5, v77, 30
	s_mov_b64 s[26:27], exec
	s_andn2_b64 s[24:25], s[4:5], exec
	s_andn2_b64 s[22:23], s[8:9], exec
	s_orn2_b64 s[2:3], s[2:3], exec
.LBB7_174:                              ;   in Loop: Header=BB7_15 Depth=1
	s_or_b64 exec, exec, s[0:1]
	s_mov_b64 s[0:1], s[98:99]
                                        ; implicit-def: $vgpr6
	s_and_saveexec_b64 s[46:47], s[2:3]
	s_cbranch_execz .LBB7_190
; %bb.175:                              ;   in Loop: Header=BB7_15 Depth=1
	v_readlane_b32 s0, v79, 4
	v_readlane_b32 s1, v79, 5
	v_cmp_ne_u32_e32 vcc, -1, v0
	s_nop 0
	v_mov_b32_e32 v1, s1
	v_cndmask_b32_e32 v5, 0, v1, vcc
	v_cndmask_b32_e32 v4, 0, v0, vcc
	v_cmp_lt_i32_e32 vcc, 0, v2
	scratch_store_dwordx2 off, v[4:5], s88 offset:20
	s_and_saveexec_b64 s[0:1], vcc
	s_cbranch_execz .LBB7_179
; %bb.176:                              ;   in Loop: Header=BB7_15 Depth=1
	s_mov_b64 s[2:3], 0
	v_mov_b32_e32 v1, v2
	v_readlane_b32 s4, v79, 13
	s_mov_b32 s5, 0x55555555
.LBB7_177:                              ;   Parent Loop BB7_15 Depth=1
                                        ; =>  This Inner Loop Header: Depth=2
	s_nop 3
	scratch_load_dword v3, off, s4
	v_add_u32_e32 v1, -1, v1
	s_add_i32 s4, s4, 4
	v_cmp_eq_u32_e32 vcc, 0, v1
	s_or_b64 s[2:3], vcc, s[2:3]
	s_waitcnt vmcnt(0)
	v_lshrrev_b32_e32 v4, 1, v3
	v_bitop3_b32 v4, v4, s5, v3 bitop3:0xc8
	v_lshl_add_u32 v4, v4, 1, v4
	v_xor_b32_e32 v3, v4, v3
	scratch_store_dword v0, v3, off
	v_add_u32_e32 v0, 4, v0
	s_andn2_b64 exec, exec, s[2:3]
	s_cbranch_execnz .LBB7_177
; %bb.178:                              ;   in Loop: Header=BB7_15 Depth=1
	s_or_b64 exec, exec, s[2:3]
	scratch_store_dword off, v2, s88 offset:16
.LBB7_179:                              ;   in Loop: Header=BB7_15 Depth=1
	v_writelane_b32 v77, s46, 31
	s_nop 1
	v_writelane_b32 v77, s47, 32
	v_writelane_b32 v77, s44, 33
	s_nop 1
	v_writelane_b32 v77, s45, 34
	;; [unrolled: 3-line block ×9, first 2 shown]
	s_or_b64 exec, exec, s[0:1]
	s_add_u32 s8, s84, 0x80
	v_readlane_b32 s2, v79, 4
	s_addc_u32 s9, s85, 0
	v_readlane_b32 s3, v79, 5
	v_lshlrev_b32_e32 v2, 1, v40
	s_getpc_b64 s[0:1]
	s_add_u32 s0, s0, _ZN3sop12sopFactorRecEPNS_3SopEiP7VecsMemIjLi8192EEPN8subgUtil4SubgILi256EEE@rel32@lo+4
	s_addc_u32 s1, s1, _ZN3sop12sopFactorRecEPNS_3SopEiP7VecsMemIjLi8192EEPN8subgUtil4SubgILi256EEE@rel32@hi+12
	v_mov_b32_e32 v0, 0x1030
	v_mov_b32_e32 v1, s3
	;; [unrolled: 1-line block ×6, first 2 shown]
	s_swappc_b64 s[30:31], s[0:1]
	s_mov_b32 s0, 0x9058
	scratch_load_dword v6, off, s0 offset:2056
	v_readlane_b32 s34, v77, 43
	v_readlane_b32 s36, v77, 41
	;; [unrolled: 1-line block ×6, first 2 shown]
	v_ashrrev_i32_e32 v2, 1, v0
	v_readlane_b32 s35, v77, 44
	v_readlane_b32 s37, v77, 42
	;; [unrolled: 1-line block ×6, first 2 shown]
	v_cmp_ge_i32_e32 vcc, v2, v40
	s_mov_b64 s[16:17], 0
	s_mov_b64 s[4:5], s[98:99]
	;; [unrolled: 1-line block ×9, first 2 shown]
	s_and_saveexec_b64 s[18:19], vcc
	v_readlane_b32 s28, v77, 47
	v_readlane_b32 s30, v77, 45
	;; [unrolled: 1-line block ×3, first 2 shown]
	s_xor_b64 s[18:19], exec, s[18:19]
	v_readlane_b32 s29, v77, 48
	v_readlane_b32 s31, v77, 46
	;; [unrolled: 1-line block ×3, first 2 shown]
	s_cbranch_execz .LBB7_183
; %bb.180:                              ;   in Loop: Header=BB7_15 Depth=1
	s_waitcnt vmcnt(0)
	v_lshl_add_u32 v2, v6, 3, v56
	scratch_load_dwordx2 v[0:1], v2, off
	s_mov_b64 s[4:5], s[98:99]
	s_waitcnt vmcnt(0)
	v_lshrrev_b32_e32 v3, 1, v0
	v_cmp_lt_i64_e32 vcc, -1, v[0:1]
	v_cmp_ge_i32_e64 s[0:1], v3, v1
	s_and_b64 s[0:1], vcc, s[0:1]
	s_and_saveexec_b64 s[2:3], s[0:1]
	s_xor_b64 s[0:1], exec, s[2:3]
	s_cbranch_execz .LBB7_182
; %bb.181:                              ;   in Loop: Header=BB7_15 Depth=1
	v_xor_b32_e32 v0, 1, v0
	scratch_store_dwordx2 v2, v[0:1], off
	s_or_b64 s[4:5], s[98:99], exec
.LBB7_182:                              ;   in Loop: Header=BB7_15 Depth=1
	s_or_b64 exec, exec, s[0:1]
	s_andn2_b64 s[20:21], s[98:99], exec
	s_and_b64 s[4:5], s[4:5], exec
	s_mov_b64 s[10:11], exec
	s_andn2_b64 s[14:15], s[44:45], exec
	s_andn2_b64 s[12:13], s[38:39], exec
	s_andn2_b64 s[8:9], s[42:43], exec
	s_andn2_b64 s[6:7], s[40:41], exec
	s_andn2_b64 s[2:3], s[36:37], exec
	s_andn2_b64 s[0:1], s[34:35], exec
	s_or_b64 s[4:5], s[20:21], s[4:5]
                                        ; implicit-def: $vgpr2
                                        ; implicit-def: $vgpr0
.LBB7_183:                              ;   in Loop: Header=BB7_15 Depth=1
	s_or_saveexec_b64 s[18:19], s[18:19]
	v_readlane_b32 s84, v79, 38
	v_readlane_b32 s86, v78, 39
	;; [unrolled: 1-line block ×3, first 2 shown]
	s_mov_b64 s[20:21], 0
	v_readlane_b32 s85, v79, 39
	v_readlane_b32 s87, v78, 40
	;; [unrolled: 1-line block ×4, first 2 shown]
	s_xor_b64 exec, exec, s[18:19]
	s_cbranch_execz .LBB7_189
; %bb.184:                              ;   in Loop: Header=BB7_15 Depth=1
	s_waitcnt vmcnt(0)
	v_cmp_eq_u32_e32 vcc, v6, v40
	s_mov_b64 s[24:25], -1
	s_mov_b64 s[22:23], s[4:5]
	s_and_saveexec_b64 s[16:17], vcc
	s_cbranch_execz .LBB7_188
; %bb.185:                              ;   in Loop: Header=BB7_15 Depth=1
	v_ashrrev_i32_e32 v3, 31, v2
	v_lshl_add_u64 v[2:3], v[2:3], 2, v[106:107]
	global_load_dword v1, v[2:3], off
	s_mov_b64 s[22:23], s[4:5]
	s_waitcnt vmcnt(0)
	v_lshlrev_b32_e32 v1, 1, v1
	v_cmp_lt_i32_e32 vcc, -1, v1
	s_and_saveexec_b64 s[20:21], vcc
	s_xor_b64 s[20:21], exec, s[20:21]
	s_cbranch_execz .LBB7_187
; %bb.186:                              ;   in Loop: Header=BB7_15 Depth=1
	v_bitop3_b32 v1, v1, v0, 1 bitop3:0xf2
	v_lshlrev_b32_e32 v2, 1, v1
	s_mov_b32 s22, 0x9058
	v_bitop3_b32 v0, v2, v0, 1 bitop3:0xf2
	scratch_store_dword off, v74, s22 offset:2056
	v_lshlrev_b32_e32 v2, 3, v40
	s_mov_b32 s22, 0x9860
	v_add3_u32 v2, s22, v2, 8
	scratch_store_dwordx2 v2, v[0:1], off
	s_or_b64 s[22:23], s[4:5], exec
.LBB7_187:                              ;   in Loop: Header=BB7_15 Depth=1
	s_or_b64 exec, exec, s[20:21]
	s_andn2_b64 s[26:27], s[4:5], exec
	s_and_b64 s[22:23], s[22:23], exec
	s_mov_b64 s[20:21], exec
	s_xor_b64 s[24:25], exec, -1
	s_or_b64 s[22:23], s[26:27], s[22:23]
.LBB7_188:                              ;   in Loop: Header=BB7_15 Depth=1
	s_or_b64 exec, exec, s[16:17]
	s_andn2_b64 s[4:5], s[4:5], exec
	s_and_b64 s[22:23], s[22:23], exec
	s_andn2_b64 s[14:15], s[14:15], exec
	s_and_b64 s[20:21], s[20:21], exec
	s_and_b64 s[16:17], s[24:25], exec
	s_andn2_b64 s[10:11], s[10:11], exec
	s_andn2_b64 s[12:13], s[12:13], exec
	;; [unrolled: 1-line block ×6, first 2 shown]
	s_or_b64 s[4:5], s[4:5], s[22:23]
	v_mov_b32_e32 v6, v74
.LBB7_189:                              ;   in Loop: Header=BB7_15 Depth=1
	s_or_b64 exec, exec, s[18:19]
	s_andn2_b64 s[18:19], s[44:45], exec
	s_and_b64 s[14:15], s[14:15], exec
	s_or_b64 s[44:45], s[18:19], s[14:15]
	s_and_b64 s[14:15], s[16:17], exec
	s_andn2_b64 s[16:17], s[38:39], exec
	s_and_b64 s[12:13], s[12:13], exec
	s_or_b64 s[26:27], s[16:17], s[12:13]
	s_andn2_b64 s[12:13], s[42:43], exec
	s_and_b64 s[8:9], s[8:9], exec
	s_or_b64 s[12:13], s[12:13], s[8:9]
	s_andn2_b64 s[8:9], s[40:41], exec
	s_and_b64 s[6:7], s[6:7], exec
	s_or_b64 s[38:39], s[8:9], s[6:7]
	s_andn2_b64 s[6:7], s[36:37], exec
	s_and_b64 s[2:3], s[2:3], exec
	s_or_b64 s[24:25], s[6:7], s[2:3]
	s_andn2_b64 s[2:3], s[34:35], exec
	s_and_b64 s[0:1], s[0:1], exec
	s_or_b64 s[22:23], s[2:3], s[0:1]
	s_andn2_b64 s[0:1], s[98:99], exec
	s_and_b64 s[2:3], s[4:5], exec
	s_and_b64 s[18:19], s[20:21], exec
	;; [unrolled: 1-line block ×3, first 2 shown]
	s_or_b64 s[0:1], s[0:1], s[2:3]
.LBB7_190:                              ;   in Loop: Header=BB7_15 Depth=1
	s_or_b64 exec, exec, s[46:47]
	v_readlane_b32 s2, v77, 21
	v_readlane_b32 s3, v77, 22
	s_andn2_b64 s[2:3], s[2:3], exec
	s_and_b64 s[4:5], s[44:45], exec
	s_or_b64 s[20:21], s[2:3], s[4:5]
	v_readlane_b32 s2, v77, 19
	v_readlane_b32 s3, v77, 20
	s_andn2_b64 s[2:3], s[2:3], exec
	s_and_b64 s[6:7], s[12:13], exec
	s_or_b64 s[12:13], s[2:3], s[6:7]
	v_readlane_b32 s2, v77, 23
	v_readlane_b32 s3, v77, 24
	s_andn2_b64 s[2:3], s[2:3], exec
	s_and_b64 s[6:7], s[38:39], exec
	s_and_b64 s[16:17], s[14:15], exec
	;; [unrolled: 1-line block ×3, first 2 shown]
	s_or_b64 s[10:11], s[2:3], s[6:7]
	v_readlane_b32 s2, v77, 29
	v_readlane_b32 s3, v77, 30
	s_andn2_b64 s[2:3], s[2:3], exec
	s_and_b64 s[6:7], s[24:25], exec
	s_or_b64 s[8:9], s[2:3], s[6:7]
	v_readlane_b32 s2, v77, 27
	v_readlane_b32 s3, v77, 28
	s_andn2_b64 s[2:3], s[2:3], exec
	s_and_b64 s[6:7], s[22:23], exec
	s_or_b64 s[6:7], s[2:3], s[6:7]
	s_andn2_b64 s[2:3], s[98:99], exec
	s_and_b64 s[0:1], s[0:1], exec
	s_and_b64 s[18:19], s[18:19], exec
	;; [unrolled: 1-line block ×3, first 2 shown]
	s_or_b64 s[98:99], s[2:3], s[0:1]
	s_andn2_b64 s[28:29], s[28:29], exec
.LBB7_191:                              ;   in Loop: Header=BB7_15 Depth=1
	s_or_b64 exec, exec, s[30:31]
	s_and_saveexec_b64 s[0:1], s[28:29]
	s_cbranch_execz .LBB7_193
; %bb.192:                              ;   in Loop: Header=BB7_15 Depth=1
	s_mov_b32 s2, 0x9058
	scratch_store_dword off, v74, s2 offset:2056
	v_lshlrev_b32_e32 v0, 3, v40
	s_mov_b32 s2, 0x9860
	v_add3_u32 v0, s2, v0, 8
	s_or_b64 s[98:99], s[98:99], exec
	s_waitcnt vmcnt(1)
	v_mov_b32_e32 v6, v74
	scratch_store_dwordx2 v0, v[108:109], off
.LBB7_193:                              ;   in Loop: Header=BB7_15 Depth=1
	s_or_b64 exec, exec, s[0:1]
	s_mov_b64 s[2:3], -1
	s_mov_b64 s[0:1], 0
	s_mov_b64 s[24:25], 0
	;; [unrolled: 1-line block ×7, first 2 shown]
	s_and_saveexec_b64 s[22:23], s[98:99]
	s_cbranch_execz .LBB7_4
; %bb.194:                              ;   in Loop: Header=BB7_15 Depth=1
	s_waitcnt vmcnt(0)
	v_cmp_ne_u32_e64 s[0:1], v6, v74
	v_cmp_eq_u32_e32 vcc, v6, v74
	s_mov_b64 s[28:29], 0
	s_and_saveexec_b64 s[2:3], vcc
	s_cbranch_execz .LBB7_196
; %bb.195:                              ;   in Loop: Header=BB7_15 Depth=1
	v_lshlrev_b32_e32 v0, 3, v40
	s_mov_b32 s26, 0x9860
	v_add3_u32 v0, s26, v0, 8
	scratch_load_dwordx2 v[0:1], v0, off
	s_andn2_b64 s[0:1], s[0:1], exec
	s_mov_b64 s[24:25], exec
	s_waitcnt vmcnt(0)
	v_lshrrev_b32_e32 v0, 1, v0
	v_cmp_ne_u32_e32 vcc, v0, v1
	s_and_b64 s[26:27], vcc, exec
	s_or_b64 s[0:1], s[0:1], s[26:27]
.LBB7_196:                              ;   in Loop: Header=BB7_15 Depth=1
	s_or_b64 exec, exec, s[2:3]
	v_mov_b32_e32 v0, 0
	s_mov_b64 s[30:31], s[6:7]
	s_mov_b64 s[34:35], s[8:9]
	;; [unrolled: 1-line block ×10, first 2 shown]
	s_and_saveexec_b64 s[26:27], s[0:1]
	s_cbranch_execz .LBB7_236
; %bb.197:                              ;   in Loop: Header=BB7_15 Depth=1
	v_cmp_lt_i32_e32 vcc, 0, v40
	s_and_saveexec_b64 s[0:1], vcc
	s_cbranch_execz .LBB7_205
; %bb.198:                              ;   in Loop: Header=BB7_15 Depth=1
	v_cmp_ne_u32_e32 vcc, 1, v40
	s_mov_b64 s[28:29], -1
	v_mov_b32_e32 v90, 0
	s_and_saveexec_b64 s[2:3], vcc
	s_cbranch_execz .LBB7_202
; %bb.199:                              ;   in Loop: Header=BB7_15 Depth=1
	v_and_b32_e32 v90, 0x7ffffffe, v40
	v_readlane_b32 s36, v79, 30
	s_movk_i32 s30, 0x410
	s_mov_b32 s31, 16
	s_mov_b64 s[28:29], 0
	v_mov_b32_e32 v0, v90
	v_readlane_b32 s37, v79, 31
	v_readlane_b32 s38, v79, 32
	;; [unrolled: 1-line block ×7, first 2 shown]
.LBB7_200:                              ;   Parent Loop BB7_15 Depth=1
                                        ; =>  This Inner Loop Header: Depth=2
	global_load_dwordx2 v[2:3], v[106:107], off
	v_add_u32_e32 v0, -2, v0
	v_cmp_eq_u32_e32 vcc, 0, v0
	v_lshl_add_u64 v[106:107], v[106:107], 0, 8
	s_waitcnt vmcnt(0)
	scratch_store_dwordx2 off, v[2:3], s31
	v_ashrrev_i32_e32 v5, 31, v3
	v_mov_b32_e32 v4, v3
	v_ashrrev_i32_e32 v3, 31, v2
	v_lshl_add_u64 v[2:3], v[2:3], 2, s[36:37]
	v_lshl_add_u64 v[4:5], v[4:5], 2, s[36:37]
	global_load_dword v2, v[2:3], off
	s_nop 0
	global_load_dword v3, v[4:5], off
	s_add_i32 s31, s31, 8
	s_waitcnt vmcnt(0)
	scratch_store_dwordx2 off, v[2:3], s30
	s_add_i32 s30, s30, 8
	s_or_b64 s[28:29], vcc, s[28:29]
	s_andn2_b64 exec, exec, s[28:29]
	s_cbranch_execnz .LBB7_200
; %bb.201:                              ;   in Loop: Header=BB7_15 Depth=1
	s_or_b64 exec, exec, s[28:29]
	v_cmp_ne_u32_e32 vcc, v40, v90
	s_orn2_b64 s[28:29], vcc, exec
.LBB7_202:                              ;   in Loop: Header=BB7_15 Depth=1
	s_or_b64 exec, exec, s[2:3]
	v_readlane_b32 s44, v79, 30
	s_and_b64 s[2:3], exec, s[28:29]
	v_readlane_b32 s45, v79, 31
	v_readlane_b32 s46, v79, 32
	;; [unrolled: 1-line block ×7, first 2 shown]
	s_mov_b64 exec, s[2:3]
	s_cbranch_execz .LBB7_205
; %bb.203:                              ;   in Loop: Header=BB7_15 Depth=1
	v_lshlrev_b32_e32 v0, 2, v90
	v_add_u32_e32 v3, 0x410, v0
	v_add_u32_e32 v4, 16, v0
	v_lshlrev_b64 v[0:1], 2, v[90:91]
	v_readlane_b32 s36, v79, 22
	v_lshl_add_u64 v[0:1], v[104:105], 2, v[0:1]
	v_readlane_b32 s38, v79, 24
	v_readlane_b32 s39, v79, 25
	v_sub_u32_e32 v2, v40, v90
	s_mov_b64 s[2:3], 0
	v_lshl_add_u64 v[0:1], s[38:39], 0, v[0:1]
	v_readlane_b32 s37, v79, 23
	v_readlane_b32 s40, v79, 26
	;; [unrolled: 1-line block ×5, first 2 shown]
.LBB7_204:                              ;   Parent Loop BB7_15 Depth=1
                                        ; =>  This Inner Loop Header: Depth=2
	global_load_dword v8, v[0:1], off
	v_add_u32_e32 v2, -1, v2
	v_cmp_eq_u32_e32 vcc, 0, v2
	v_lshl_add_u64 v[0:1], v[0:1], 0, 4
	s_or_b64 s[2:3], vcc, s[2:3]
	s_waitcnt vmcnt(0)
	v_ashrrev_i32_e32 v9, 31, v8
	v_lshl_add_u64 v[10:11], v[8:9], 2, s[44:45]
	global_load_dword v5, v[10:11], off
	s_nop 0
	scratch_store_dword v4, v8, off
	v_add_u32_e32 v4, 4, v4
	s_waitcnt vmcnt(1)
	scratch_store_dword v3, v5, off
	v_add_u32_e32 v3, 4, v3
	s_andn2_b64 exec, exec, s[2:3]
	s_cbranch_execnz .LBB7_204
.LBB7_205:                              ;   in Loop: Header=BB7_15 Depth=1
	s_or_b64 exec, exec, s[0:1]
	v_cmp_lt_i32_e32 vcc, v40, v6
	s_mov_b64 s[52:53], -1
	v_mov_b32_e32 v1, 0
	s_mov_b64 s[0:1], 0
	s_mov_b64 s[2:3], s[6:7]
	;; [unrolled: 1-line block ×12, first 2 shown]
	s_and_saveexec_b64 s[28:29], vcc
	s_cbranch_execz .LBB7_233
; %bb.206:                              ;   in Loop: Header=BB7_15 Depth=1
	v_mov_b32_e32 v7, 0
	s_mov_b64 s[40:41], 0
	v_mov_b32_e32 v8, v40
                                        ; implicit-def: $sgpr38_sgpr39
                                        ; implicit-def: $sgpr36_sgpr37
                                        ; implicit-def: $sgpr34_sgpr35
                                        ; implicit-def: $sgpr30_sgpr31
                                        ; implicit-def: $sgpr46_sgpr47
                                        ; implicit-def: $sgpr42_sgpr43
                                        ; implicit-def: $sgpr44_sgpr45
                                        ; implicit-def: $sgpr48_sgpr49
                                        ; implicit-def: $sgpr50_sgpr51
	s_branch .LBB7_212
.LBB7_207:                              ;   in Loop: Header=BB7_212 Depth=2
	s_or_b64 exec, exec, s[68:69]
	s_andn2_b64 s[60:61], s[60:61], exec
	s_and_b64 s[66:67], s[66:67], exec
	s_or_b64 s[60:61], s[60:61], s[66:67]
	s_andn2_b64 s[56:57], s[56:57], exec
	s_orn2_b64 s[66:67], s[64:65], exec
.LBB7_208:                              ;   in Loop: Header=BB7_212 Depth=2
	s_or_b64 exec, exec, s[62:63]
	s_andn2_b64 s[2:3], s[2:3], exec
	s_and_b64 s[60:61], s[60:61], exec
	s_andn2_b64 s[0:1], s[0:1], exec
	s_and_b64 s[56:57], s[56:57], exec
	s_or_b64 s[2:3], s[2:3], s[60:61]
	s_or_b64 s[0:1], s[0:1], s[56:57]
	s_orn2_b64 s[56:57], s[66:67], exec
.LBB7_209:                              ;   in Loop: Header=BB7_212 Depth=2
	s_or_b64 exec, exec, s[58:59]
	s_and_b64 s[2:3], s[2:3], exec
	s_orn2_b64 s[58:59], s[0:1], exec
	s_orn2_b64 s[0:1], s[56:57], exec
.LBB7_210:                              ;   in Loop: Header=BB7_212 Depth=2
	s_or_b64 exec, exec, s[54:55]
	s_andn2_b64 s[50:51], s[50:51], exec
	s_and_b64 s[2:3], s[2:3], exec
	s_or_b64 s[50:51], s[50:51], s[2:3]
	s_andn2_b64 s[2:3], s[48:49], exec
	s_and_b64 s[48:49], s[58:59], exec
	s_or_b64 s[48:49], s[2:3], s[48:49]
	s_andn2_b64 s[2:3], s[46:47], exec
	s_and_b64 s[0:1], s[0:1], exec
	s_andn2_b64 s[44:45], s[44:45], exec
	s_or_b64 s[42:43], s[42:43], exec
	s_or_b64 s[46:47], s[2:3], s[0:1]
.LBB7_211:                              ;   in Loop: Header=BB7_212 Depth=2
	s_or_b64 exec, exec, s[52:53]
	s_xor_b64 s[0:1], s[50:51], -1
	s_xor_b64 s[2:3], s[48:49], -1
	s_and_b64 s[52:53], exec, s[46:47]
	s_or_b64 s[40:41], s[52:53], s[40:41]
	s_andn2_b64 s[30:31], s[30:31], exec
	s_and_b64 s[52:53], s[44:45], exec
	s_andn2_b64 s[36:37], s[36:37], exec
	s_and_b64 s[0:1], s[0:1], exec
	s_or_b64 s[30:31], s[30:31], s[52:53]
	s_andn2_b64 s[34:35], s[34:35], exec
	s_and_b64 s[52:53], s[42:43], exec
	s_or_b64 s[36:37], s[36:37], s[0:1]
	;; [unrolled: 3-line block ×3, first 2 shown]
	s_or_b64 s[38:39], s[0:1], s[2:3]
	s_andn2_b64 exec, exec, s[40:41]
	s_cbranch_execz .LBB7_230
.LBB7_212:                              ;   Parent Loop BB7_15 Depth=1
                                        ; =>  This Loop Header: Depth=2
                                        ;       Child Loop BB7_218 Depth 3
	v_lshlrev_b32_e32 v0, 3, v8
	s_mov_b32 s0, 0x9860
	v_add3_u32 v0, s0, v0, 8
	scratch_load_dwordx2 v[0:1], v0, off
	s_andn2_b64 s[50:51], s[50:51], exec
	s_or_b64 s[48:49], s[48:49], exec
	s_or_b64 s[44:45], s[44:45], exec
	s_andn2_b64 s[42:43], s[42:43], exec
	s_or_b64 s[46:47], s[46:47], exec
	s_waitcnt vmcnt(0)
	v_lshrrev_b32_e32 v2, 1, v0
	v_cmp_gt_i32_e32 vcc, v2, v1
	s_and_saveexec_b64 s[52:53], vcc
	s_cbranch_execz .LBB7_211
; %bb.213:                              ;   in Loop: Header=BB7_212 Depth=2
	v_ashrrev_i32_e32 v9, 1, v1
	v_lshrrev_b32_e32 v2, 2, v0
	v_max_i32_e32 v3, v2, v9
	v_cmp_lt_i32_e32 vcc, v3, v8
	s_mov_b64 s[0:1], -1
	s_mov_b64 s[2:3], 0
	s_mov_b64 s[58:59], -1
	s_and_saveexec_b64 s[54:55], vcc
	s_cbranch_execz .LBB7_210
; %bb.214:                              ;   in Loop: Header=BB7_212 Depth=2
	v_lshl_add_u32 v3, v9, 2, v57
	v_lshlrev_b32_e32 v10, 2, v2
	scratch_load_dword v3, v3, off
	s_nop 0
	scratch_load_dword v2, v10, off offset:16
	v_mov_b32_e32 v4, -1
	s_mov_b64 s[56:57], -1
	s_mov_b64 s[60:61], -1
	s_waitcnt vmcnt(1)
	v_cmp_ne_u32_e32 vcc, -1, v3
	s_waitcnt vmcnt(0)
	v_cmp_ne_u32_e64 s[0:1], -1, v2
	s_and_b64 s[62:63], vcc, s[0:1]
	s_mov_b64 s[0:1], -1
	s_and_saveexec_b64 s[58:59], s[62:63]
	s_cbranch_execz .LBB7_224
; %bb.215:                              ;   in Loop: Header=BB7_212 Depth=2
	v_and_b32_e32 v1, 1, v1
	v_bfe_u32 v0, v0, 1, 1
	v_lshl_or_b32 v3, v3, 1, v1
	v_lshl_or_b32 v0, v2, 1, v0
	v_min_i32_e32 v1, v3, v0
	v_max_i32_e32 v0, v3, v0
	v_lshrrev_b32_e32 v2, 1, v1
	v_xor_b32_e32 v2, v0, v2
	s_mov_b32 s0, 0xff51afd7
	s_mov_b32 s2, 0xed558ccd
	v_readlane_b32 s66, v79, 10
	v_mul_lo_u32 v4, v2, s0
	v_mad_u64_u32 v[2:3], s[0:1], v2, s2, 0
	v_mul_lo_u32 v5, v1, s2
	v_readlane_b32 s67, v79, 11
	v_add3_u32 v3, v3, v4, v5
	v_cvt_f32_u32_e32 v5, s66
	v_cvt_f32_u32_e32 v11, s67
	v_lshrrev_b32_e32 v4, 1, v3
	v_xor_b32_e32 v2, v4, v2
	s_mov_b32 s0, 0x1a85ec53
	v_fmac_f32_e32 v5, 0x4f800000, v11
	s_mov_b32 s1, 0xc4ceb9fe
	v_rcp_f32_e32 v5, v5
	v_mul_lo_u32 v4, v3, s0
	v_mul_lo_u32 v12, v2, s1
	v_mad_u64_u32 v[2:3], s[0:1], v2, s0, 0
	v_add3_u32 v11, v3, v12, v4
	v_lshrrev_b32_e32 v3, 1, v11
	v_xor_b32_e32 v14, v3, v2
	v_mul_f32_e32 v2, 0x5f7ffffc, v5
	v_mul_f32_e32 v3, 0x2f800000, v2
	v_trunc_f32_e32 v3, v3
	v_fmac_f32_e32 v2, 0xcf800000, v3
	v_cvt_u32_f32_e32 v2, v2
	v_cvt_u32_f32_e32 v3, v3
	s_sub_u32 s2, 0, s66
	s_subb_u32 s3, 0, s67
	v_readfirstlane_b32 s0, v2
	v_readfirstlane_b32 s60, v3
	s_mul_hi_u32 s33, s2, s0
	s_mul_i32 s61, s2, s60
	s_mul_i32 s1, s3, s0
	s_add_i32 s33, s33, s61
	s_add_i32 s33, s33, s1
	s_mul_i32 s62, s2, s0
	s_mul_i32 s61, s0, s33
	s_mul_hi_u32 s63, s0, s62
	s_mul_hi_u32 s1, s0, s33
	s_add_u32 s61, s63, s61
	s_addc_u32 s1, 0, s1
	s_mul_hi_u32 s64, s60, s62
	s_mul_i32 s62, s60, s62
	s_add_u32 s61, s61, s62
	s_mul_hi_u32 s63, s60, s33
	s_addc_u32 s1, s1, s64
	s_addc_u32 s61, s63, 0
	s_mul_i32 s33, s60, s33
	s_add_u32 s1, s1, s33
	s_addc_u32 s33, 0, s61
	s_add_u32 s61, s0, s1
	s_cselect_b64 s[0:1], -1, 0
	s_cmp_lg_u64 s[0:1], 0
	s_addc_u32 s33, s60, s33
	s_mul_i32 s0, s2, s33
	s_mul_hi_u32 s1, s2, s61
	s_add_i32 s0, s1, s0
	s_mul_i32 s3, s3, s61
	s_add_i32 s0, s0, s3
	s_mul_i32 s2, s2, s61
	s_mul_hi_u32 s3, s33, s2
	s_mul_i32 s60, s33, s2
	s_mul_i32 s63, s61, s0
	s_mul_hi_u32 s2, s61, s2
	s_mul_hi_u32 s62, s61, s0
	s_add_u32 s2, s2, s63
	s_addc_u32 s62, 0, s62
	s_add_u32 s2, s2, s60
	s_mul_hi_u32 s1, s33, s0
	s_addc_u32 s2, s62, s3
	s_addc_u32 s1, s1, 0
	s_mul_i32 s0, s33, s0
	s_add_u32 s0, s2, s0
	s_addc_u32 s2, 0, s1
	s_add_u32 s3, s61, s0
	s_cselect_b64 s[0:1], -1, 0
	s_cmp_lg_u64 s[0:1], 0
	s_addc_u32 s2, s33, s2
	v_mad_u64_u32 v[2:3], s[0:1], v14, s2, 0
	v_mul_hi_u32 v90, v14, s3
	v_lshl_add_u64 v[2:3], v[90:91], 0, v[2:3]
	v_mad_u64_u32 v[12:13], s[0:1], v11, s3, 0
	v_add_co_u32_e32 v2, vcc, v2, v12
	v_mad_u64_u32 v[4:5], s[0:1], v11, s2, 0
	s_nop 0
	v_addc_co_u32_e32 v90, vcc, v3, v13, vcc
	s_nop 1
	v_addc_co_u32_e32 v5, vcc, 0, v5, vcc
	v_lshl_add_u64 v[2:3], v[90:91], 0, v[4:5]
	v_mul_lo_u32 v4, s67, v2
	v_mul_lo_u32 v5, s66, v3
	v_mad_u64_u32 v[2:3], s[0:1], s66, v2, 0
	v_add3_u32 v3, v3, v5, v4
	v_sub_u32_e32 v4, v11, v3
	v_mov_b32_e32 v5, s67
	v_sub_co_u32_e32 v2, vcc, v14, v2
	s_nop 1
	v_subb_co_u32_e64 v4, s[0:1], v4, v5, vcc
	v_subrev_co_u32_e64 v12, s[0:1], s66, v2
	v_subb_co_u32_e32 v3, vcc, v11, v3, vcc
	s_nop 0
	v_subbrev_co_u32_e64 v13, s[2:3], 0, v4, s[0:1]
	v_cmp_le_u32_e64 s[2:3], s67, v13
	v_subb_co_u32_e64 v4, s[0:1], v4, v5, s[0:1]
	s_nop 0
	v_cndmask_b32_e64 v14, 0, -1, s[2:3]
	v_cmp_le_u32_e64 s[2:3], s66, v12
	v_subrev_co_u32_e64 v5, s[0:1], s66, v12
	s_nop 0
	v_cndmask_b32_e64 v15, 0, -1, s[2:3]
	v_cmp_eq_u32_e64 s[2:3], s67, v13
	v_subbrev_co_u32_e64 v4, s[0:1], 0, v4, s[0:1]
	s_nop 0
	v_cndmask_b32_e64 v14, v14, v15, s[2:3]
	v_cmp_le_u32_e32 vcc, s67, v3
	v_cmp_ne_u32_e64 s[0:1], 0, v14
	s_nop 0
	v_cndmask_b32_e64 v11, 0, -1, vcc
	v_cmp_le_u32_e32 vcc, s66, v2
	v_cndmask_b32_e64 v4, v13, v4, s[0:1]
	s_nop 0
	v_cndmask_b32_e64 v13, 0, -1, vcc
	v_cmp_eq_u32_e32 vcc, s67, v3
	s_nop 1
	v_cndmask_b32_e32 v11, v11, v13, vcc
	v_cmp_ne_u32_e32 vcc, 0, v11
	s_nop 1
	v_cndmask_b32_e32 v3, v3, v4, vcc
	v_cndmask_b32_e64 v4, v12, v5, s[0:1]
	v_readlane_b32 s0, v79, 6
	v_cndmask_b32_e32 v2, v2, v4, vcc
	v_readlane_b32 s1, v79, 7
	v_readlane_b32 s2, v79, 8
	;; [unrolled: 1-line block ×3, first 2 shown]
	v_lshl_add_u64 v[4:5], v[2:3], 3, s[0:1]
	global_load_dwordx2 v[4:5], v[4:5], off
	s_mov_b64 s[2:3], -1
	s_waitcnt vmcnt(0)
	v_cmp_ne_u64_e32 vcc, v[4:5], v[0:1]
	s_and_saveexec_b64 s[0:1], vcc
	s_cbranch_execz .LBB7_221
; %bb.216:                              ;   in Loop: Header=BB7_212 Depth=2
	s_mov_b64 s[2:3], 0
                                        ; implicit-def: $sgpr60_sgpr61
                                        ; implicit-def: $sgpr64_sgpr65
                                        ; implicit-def: $sgpr62_sgpr63
	s_branch .LBB7_218
.LBB7_217:                              ;   in Loop: Header=BB7_218 Depth=3
	s_or_b64 exec, exec, s[66:67]
	s_xor_b64 s[66:67], s[62:63], -1
	s_and_b64 s[68:69], exec, s[64:65]
	s_or_b64 s[2:3], s[68:69], s[2:3]
	s_andn2_b64 s[60:61], s[60:61], exec
	s_and_b64 s[66:67], s[66:67], exec
	s_or_b64 s[60:61], s[60:61], s[66:67]
	s_andn2_b64 exec, exec, s[2:3]
	s_cbranch_execz .LBB7_220
.LBB7_218:                              ;   Parent Loop BB7_15 Depth=1
                                        ;     Parent Loop BB7_212 Depth=2
                                        ; =>    This Inner Loop Header: Depth=3
	v_cmp_ne_u64_e32 vcc, -1, v[4:5]
	s_or_b64 s[62:63], s[62:63], exec
	s_or_b64 s[64:65], s[64:65], exec
                                        ; implicit-def: $vgpr4_vgpr5
	s_and_saveexec_b64 s[66:67], vcc
	s_cbranch_execz .LBB7_217
; %bb.219:                              ;   in Loop: Header=BB7_218 Depth=3
	v_readlane_b32 s68, v79, 10
	v_lshl_add_u64 v[2:3], v[2:3], 0, 1
	v_readlane_b32 s69, v79, 11
	s_andn2_b64 s[64:65], s[64:65], exec
	s_andn2_b64 s[62:63], s[62:63], exec
	v_cmp_ne_u64_e32 vcc, s[68:69], v[2:3]
	v_readlane_b32 s68, v79, 6
	v_readlane_b32 s69, v79, 7
	v_cndmask_b32_e32 v3, 0, v3, vcc
	v_cndmask_b32_e32 v2, 0, v2, vcc
	v_lshl_add_u64 v[4:5], v[2:3], 3, s[68:69]
	global_load_dwordx2 v[4:5], v[4:5], off
	v_readlane_b32 s70, v79, 8
	v_readlane_b32 s71, v79, 9
	s_waitcnt vmcnt(0)
	v_cmp_eq_u64_e32 vcc, v[4:5], v[0:1]
	s_and_b64 s[68:69], vcc, exec
	s_or_b64 s[64:65], s[64:65], s[68:69]
	s_branch .LBB7_217
.LBB7_220:                              ;   in Loop: Header=BB7_212 Depth=2
	s_or_b64 exec, exec, s[2:3]
	s_orn2_b64 s[2:3], s[60:61], exec
.LBB7_221:                              ;   in Loop: Header=BB7_212 Depth=2
	s_or_b64 exec, exec, s[0:1]
	v_mov_b32_e32 v4, -1
	s_and_saveexec_b64 s[0:1], s[2:3]
	s_cbranch_execz .LBB7_223
; %bb.222:                              ;   in Loop: Header=BB7_212 Depth=2
	v_readlane_b32 s60, v79, 6
	v_readlane_b32 s62, v79, 8
	;; [unrolled: 1-line block ×4, first 2 shown]
	s_nop 0
	v_lshl_add_u64 v[0:1], v[2:3], 2, s[62:63]
	global_load_dword v4, v[0:1], off
.LBB7_223:                              ;   in Loop: Header=BB7_212 Depth=2
	s_or_b64 exec, exec, s[0:1]
	s_waitcnt vmcnt(0)
	v_cmp_ne_u32_e32 vcc, v4, v94
	s_mov_b64 s[2:3], exec
	s_xor_b64 s[0:1], exec, -1
	s_orn2_b64 s[60:61], vcc, exec
.LBB7_224:                              ;   in Loop: Header=BB7_212 Depth=2
	s_or_b64 exec, exec, s[58:59]
	s_and_saveexec_b64 s[58:59], s[60:61]
	s_cbranch_execz .LBB7_209
; %bb.225:                              ;   in Loop: Header=BB7_212 Depth=2
	v_cmp_ne_u32_e64 s[64:65], -1, v4
	v_cmp_eq_u32_e32 vcc, -1, v4
	s_mov_b64 s[56:57], s[0:1]
	s_mov_b64 s[60:61], s[2:3]
	s_and_saveexec_b64 s[62:63], vcc
; %bb.226:                              ;   in Loop: Header=BB7_212 Depth=2
	v_cmp_lt_i32_e32 vcc, v7, v73
	v_add_u32_e32 v0, 1, v7
	s_andn2_b64 s[64:65], s[64:65], exec
	s_and_b64 s[66:67], vcc, exec
	s_or_b64 s[60:61], s[2:3], exec
	s_andn2_b64 s[56:57], s[0:1], exec
	s_or_b64 s[64:65], s[64:65], s[66:67]
	v_mov_b32_e32 v7, v0
; %bb.227:                              ;   in Loop: Header=BB7_212 Depth=2
	s_or_b64 exec, exec, s[62:63]
	s_mov_b64 s[66:67], -1
	s_and_saveexec_b64 s[62:63], s[64:65]
	s_cbranch_execz .LBB7_208
; %bb.228:                              ;   in Loop: Header=BB7_212 Depth=2
	v_lshl_add_u32 v0, v9, 2, v58
	scratch_load_dword v1, v10, off offset:1040
	scratch_load_dword v2, v0, off
	s_mov_b32 s33, 0x3b9aca00
	v_lshlrev_b32_e32 v0, 2, v8
	s_mov_b64 s[64:65], -1
	s_waitcnt vmcnt(0)
	v_max_i32_e32 v1, v2, v1
	v_add_u32_e32 v2, 1, v1
	v_cmp_gt_i32_e32 vcc, s33, v1
	scratch_store_dword v0, v2, off offset:1040
	s_and_saveexec_b64 s[68:69], vcc
	s_cbranch_execz .LBB7_207
; %bb.229:                              ;   in Loop: Header=BB7_212 Depth=2
	v_add_u32_e32 v8, 1, v8
	v_cmp_ge_i32_e32 vcc, v8, v6
	s_xor_b64 s[66:67], exec, -1
	s_orn2_b64 s[64:65], vcc, exec
	scratch_store_dword v0, v4, off offset:16
	s_branch .LBB7_207
.LBB7_230:                              ;   in Loop: Header=BB7_15 Depth=1
	s_or_b64 exec, exec, s[40:41]
	s_mov_b64 s[52:53], 0
	v_mov_b32_e32 v1, 0
	s_mov_b64 s[0:1], 0
	s_and_saveexec_b64 s[2:3], s[38:39]
	s_xor_b64 s[2:3], exec, s[2:3]
; %bb.231:                              ;   in Loop: Header=BB7_15 Depth=1
	s_mov_b64 s[0:1], exec
	s_and_b64 s[52:53], s[36:37], exec
	v_mov_b32_e32 v1, v7
; %bb.232:                              ;   in Loop: Header=BB7_15 Depth=1
	s_or_b64 exec, exec, s[2:3]
	s_andn2_b64 s[50:51], s[20:21], exec
	s_and_b64 s[48:49], s[34:35], exec
	s_and_b64 s[46:47], s[30:31], exec
	s_andn2_b64 s[44:45], s[18:19], exec
	s_andn2_b64 s[42:43], s[16:17], exec
	;; [unrolled: 1-line block ×8, first 2 shown]
	s_and_b64 s[0:1], s[0:1], exec
	s_orn2_b64 s[52:53], s[52:53], exec
.LBB7_233:                              ;   in Loop: Header=BB7_15 Depth=1
	s_or_b64 exec, exec, s[28:29]
	v_mov_b32_e32 v0, -1
	s_and_saveexec_b64 s[28:29], s[52:53]
	s_cbranch_execz .LBB7_235
; %bb.234:                              ;   in Loop: Header=BB7_15 Depth=1
	v_lshl_add_u32 v0, v6, 2, v58
	v_add_u32_e32 v0, -4, v0
	scratch_load_dword v59, v0, off
	s_or_b64 s[0:1], s[0:1], exec
	v_mov_b32_e32 v0, v1
.LBB7_235:                              ;   in Loop: Header=BB7_15 Depth=1
	s_or_b64 exec, exec, s[28:29]
	s_andn2_b64 s[28:29], s[20:21], exec
	s_and_b64 s[50:51], s[50:51], exec
	s_or_b64 s[50:51], s[28:29], s[50:51]
	s_and_b64 s[28:29], s[46:47], exec
	s_andn2_b64 s[46:47], s[18:19], exec
	s_and_b64 s[44:45], s[44:45], exec
	s_or_b64 s[46:47], s[46:47], s[44:45]
	s_andn2_b64 s[44:45], s[16:17], exec
	s_and_b64 s[42:43], s[42:43], exec
	s_or_b64 s[44:45], s[44:45], s[42:43]
	;; [unrolled: 3-line block ×8, first 2 shown]
	s_andn2_b64 s[2:3], s[24:25], exec
	s_and_b64 s[0:1], s[0:1], exec
	s_and_b64 s[48:49], s[48:49], exec
	s_or_b64 s[24:25], s[2:3], s[0:1]
.LBB7_236:                              ;   in Loop: Header=BB7_15 Depth=1
	s_or_b64 exec, exec, s[26:27]
	s_mov_b64 s[2:3], -1
	s_mov_b64 s[68:69], 0
	s_mov_b64 s[70:71], 0
	;; [unrolled: 1-line block ×5, first 2 shown]
	s_and_saveexec_b64 s[26:27], s[24:25]
	s_cbranch_execz .LBB7_3
; %bb.237:                              ;   in Loop: Header=BB7_15 Depth=1
	v_ashrrev_i32_e32 v1, 31, v75
	v_cmp_lt_i32_e32 vcc, -1, v0
	s_and_saveexec_b64 s[24:25], vcc
	s_cbranch_execz .LBB7_247
; %bb.238:                              ;   in Loop: Header=BB7_15 Depth=1
	v_cmp_ne_u32_e32 vcc, -1, v75
	v_mov_b32_e32 v2, 1
	s_and_saveexec_b64 s[52:53], vcc
	s_cbranch_execz .LBB7_246
; %bb.239:                              ;   in Loop: Header=BB7_15 Depth=1
	v_cmp_ge_i32_e32 vcc, v0, v75
	s_mov_b64 s[0:1], -1
	s_and_saveexec_b64 s[54:55], vcc
	s_cbranch_execz .LBB7_243
; %bb.240:                              ;   in Loop: Header=BB7_15 Depth=1
	v_cmp_eq_u32_e32 vcc, v0, v75
	s_mov_b64 s[0:1], 0
	s_and_saveexec_b64 s[56:57], vcc
	s_cbranch_execz .LBB7_242
; %bb.241:                              ;   in Loop: Header=BB7_15 Depth=1
	v_lshl_add_u32 v0, v6, 3, v56
	scratch_load_dwordx2 v[2:3], v0, off
	s_mov_b32 s0, 0
	s_mov_b32 s1, 2
	s_waitcnt vmcnt(0)
	v_cmp_gt_u64_e32 vcc, s[0:1], v[2:3]
	v_lshrrev_b32_e32 v0, 1, v2
	v_and_b32_e32 v2, 1, v2
	v_cmp_eq_u32_e64 s[0:1], v0, v3
	v_cmp_eq_u32_e64 s[2:3], v2, v3
	s_and_b64 s[0:1], s[0:1], s[2:3]
	s_and_b64 s[0:1], vcc, s[0:1]
	v_cmp_lt_i32_e32 vcc, v59, v72
	s_or_b64 s[0:1], s[0:1], vcc
	s_and_b64 s[0:1], s[0:1], exec
.LBB7_242:                              ;   in Loop: Header=BB7_15 Depth=1
	s_or_b64 exec, exec, s[56:57]
	s_orn2_b64 s[0:1], s[0:1], exec
.LBB7_243:                              ;   in Loop: Header=BB7_15 Depth=1
	s_or_b64 exec, exec, s[54:55]
	s_and_saveexec_b64 s[2:3], s[0:1]
; %bb.244:                              ;   in Loop: Header=BB7_15 Depth=1
	v_mov_b32_e32 v1, 1
; %bb.245:                              ;   in Loop: Header=BB7_15 Depth=1
	s_or_b64 exec, exec, s[2:3]
	v_mov_b32_e32 v2, v1
.LBB7_246:                              ;   in Loop: Header=BB7_15 Depth=1
	s_or_b64 exec, exec, s[52:53]
	v_mov_b32_e32 v1, v2
.LBB7_247:                              ;   in Loop: Header=BB7_15 Depth=1
	s_or_b64 exec, exec, s[24:25]
	v_cmp_ne_u32_e32 vcc, -1, v1
	s_mov_b64 s[80:81], 0
	s_mov_b64 s[0:1], s[30:31]
	;; [unrolled: 1-line block ×12, first 2 shown]
	s_and_saveexec_b64 s[2:3], vcc
	s_xor_b64 s[2:3], exec, s[2:3]
	s_cbranch_execz .LBB7_267
; %bb.248:                              ;   in Loop: Header=BB7_15 Depth=1
	s_mov_b32 s0, 0x9058
	scratch_load_dword v0, off, s0
	scratch_load_dword v4, off, s0 offset:2056
	v_cmp_eq_u32_e32 vcc, 0, v1
	v_readlane_b32 s52, v79, 30
	v_readlane_b32 s53, v79, 31
	;; [unrolled: 1-line block ×8, first 2 shown]
	s_mov_b64 s[52:53], -1
	s_mov_b64 s[78:79], 0
	v_lshl_add_u64 v[2:3], v[62:63], 2, s[58:59]
	s_mov_b64 s[54:55], 0
	s_mov_b64 s[56:57], 0
	;; [unrolled: 1-line block ×3, first 2 shown]
	s_waitcnt vmcnt(0)
	v_cndmask_b32_e32 v6, v4, v0, vcc
	v_sub_u32_e32 v0, v6, v40
	v_cmp_lt_i32_e64 s[0:1], 0, v0
	global_store_dword v[2:3], v0, off
	s_and_saveexec_b64 s[24:25], s[0:1]
	s_cbranch_execz .LBB7_266
; %bb.249:                              ;   in Loop: Header=BB7_15 Depth=1
	v_readlane_b32 s52, v79, 30
	v_readlane_b32 s56, v79, 34
	;; [unrolled: 1-line block ×5, first 2 shown]
	v_lshl_add_u64 v[0:1], v[62:63], 2, s[56:57]
	global_load_dword v2, v[0:1], off
	v_readlane_b32 s58, v79, 36
	v_readlane_b32 s59, v79, 37
	v_readlane_b32 s53, v79, 31
	s_mov_b64 s[54:55], -1
	s_mov_b64 s[58:59], 0
	s_mov_b64 s[62:63], 0
	;; [unrolled: 1-line block ×3, first 2 shown]
	s_waitcnt vmcnt(0)
	v_cmp_eq_u32_e64 s[0:1], -1, v2
	s_and_saveexec_b64 s[52:53], s[0:1]
	s_cbranch_execz .LBB7_265
; %bb.250:                              ;   in Loop: Header=BB7_15 Depth=1
	v_cmp_gt_i32_e64 s[0:1], v6, v40
	s_mov_b64 s[56:57], -1
	s_mov_b64 s[60:61], -1
	global_store_dword v[0:1], v91, off
	s_and_saveexec_b64 s[54:55], s[0:1]
	s_cbranch_execz .LBB7_264
; %bb.251:                              ;   in Loop: Header=BB7_15 Depth=1
	v_cndmask_b32_e32 v0, v42, v41, vcc
	v_lshl_add_u32 v7, v40, 3, v0
	v_mov_b32_e32 v1, 0
	s_mov_b64 s[56:57], 0
	v_mov_b32_e32 v0, v62
                                        ; implicit-def: $sgpr60_sgpr61
                                        ; implicit-def: $sgpr58_sgpr59
                                        ; implicit-def: $sgpr0_sgpr1
                                        ; implicit-def: $sgpr62_sgpr63
                                        ; implicit-def: $sgpr64_sgpr65
	s_branch .LBB7_253
.LBB7_252:                              ;   in Loop: Header=BB7_253 Depth=2
	s_or_b64 exec, exec, s[68:69]
	s_xor_b64 s[68:69], s[72:73], -1
	s_and_b64 s[66:67], exec, s[66:67]
	s_or_b64 s[56:57], s[66:67], s[56:57]
	s_andn2_b64 s[0:1], s[0:1], exec
	s_and_b64 s[66:67], s[68:69], exec
	s_or_b64 s[0:1], s[0:1], s[66:67]
	s_andn2_b64 s[58:59], s[58:59], exec
	s_and_b64 s[66:67], s[64:65], exec
	s_or_b64 s[58:59], s[58:59], s[66:67]
	s_andn2_b64 s[60:61], s[60:61], exec
	s_and_b64 s[66:67], s[62:63], exec
	s_or_b64 s[60:61], s[60:61], s[66:67]
	s_andn2_b64 exec, exec, s[56:57]
	s_cbranch_execz .LBB7_263
.LBB7_253:                              ;   Parent Loop BB7_15 Depth=1
                                        ; =>  This Inner Loop Header: Depth=2
	v_cmp_eq_u32_e32 vcc, 8, v1
	s_mov_b64 s[66:67], -1
	s_mov_b64 s[70:71], -1
	s_and_saveexec_b64 s[68:69], vcc
	s_cbranch_execz .LBB7_261
; %bb.254:                              ;   in Loop: Header=BB7_253 Depth=2
	s_mov_b64 s[72:73], exec
	v_mbcnt_lo_u32_b32 v1, s72, 0
	v_mbcnt_hi_u32_b32 v1, s73, v1
	v_cmp_eq_u32_e32 vcc, 0, v1
                                        ; implicit-def: $vgpr2
	s_and_saveexec_b64 s[70:71], vcc
	s_cbranch_execz .LBB7_256
; %bb.255:                              ;   in Loop: Header=BB7_253 Depth=2
	s_bcnt1_i32_b64 s33, s[72:73]
	v_readlane_b32 s72, v79, 18
	v_mov_b32_e32 v2, s33
	v_readlane_b32 s73, v79, 19
	v_readlane_b32 s74, v79, 20
	;; [unrolled: 1-line block ×3, first 2 shown]
	s_nop 2
	global_atomic_add v2, v91, v2, s[72:73] sc0
.LBB7_256:                              ;   in Loop: Header=BB7_253 Depth=2
	s_or_b64 exec, exec, s[70:71]
	s_waitcnt vmcnt(0)
	v_readfirstlane_b32 s33, v2
	s_mov_b64 s[72:73], 0
	s_mov_b64 s[76:77], -1
	v_add_u32_e32 v2, s33, v1
	v_readlane_b32 s33, v79, 15
	s_mov_b64 s[74:75], 0
	s_nop 0
	v_cmp_gt_i32_e32 vcc, s33, v2
	s_and_saveexec_b64 s[70:71], vcc
	s_cbranch_execz .LBB7_260
; %bb.257:                              ;   in Loop: Header=BB7_253 Depth=2
	v_readlane_b32 s72, v79, 30
	v_ashrrev_i32_e32 v3, 31, v2
	v_readlane_b32 s76, v79, 34
	v_readlane_b32 s77, v79, 35
	;; [unrolled: 1-line block ×4, first 2 shown]
	v_lshl_add_u64 v[4:5], v[2:3], 2, s[76:77]
	global_load_dword v1, v[4:5], off
	v_readlane_b32 s75, v79, 33
	s_mov_b64 s[72:73], 0
	v_readlane_b32 s78, v79, 36
	v_readlane_b32 s79, v79, 37
	s_waitcnt vmcnt(0)
	v_cmp_eq_u32_e32 vcc, -1, v1
	s_and_saveexec_b64 s[74:75], vcc
	s_cbranch_execz .LBB7_259
; %bb.258:                              ;   in Loop: Header=BB7_253 Depth=2
	v_readlane_b32 s76, v79, 30
	v_ashrrev_i32_e32 v1, 31, v0
	v_readlane_b32 s80, v79, 34
	v_readlane_b32 s81, v79, 35
	s_mov_b64 s[72:73], exec
	v_readlane_b32 s77, v79, 31
	v_lshl_add_u64 v[0:1], v[0:1], 2, s[80:81]
	v_readlane_b32 s78, v79, 32
	v_readlane_b32 s79, v79, 33
	;; [unrolled: 1-line block ×4, first 2 shown]
	global_store_dword v[0:1], v2, off
	global_store_dword v[4:5], v91, off
.LBB7_259:                              ;   in Loop: Header=BB7_253 Depth=2
	s_or_b64 exec, exec, s[74:75]
	s_mov_b64 s[74:75], exec
	s_xor_b64 s[76:77], exec, -1
	s_and_b64 s[72:73], s[72:73], exec
.LBB7_260:                              ;   in Loop: Header=BB7_253 Depth=2
	s_or_b64 exec, exec, s[70:71]
	s_andn2_b64 s[64:65], s[64:65], exec
	s_and_b64 s[70:71], s[76:77], exec
	s_or_b64 s[64:65], s[64:65], s[70:71]
	s_andn2_b64 s[62:63], s[62:63], exec
	s_and_b64 s[70:71], s[74:75], exec
	v_mov_b32_e32 v1, 0
	s_or_b64 s[62:63], s[62:63], s[70:71]
	s_orn2_b64 s[70:71], s[72:73], exec
	v_mov_b32_e32 v0, v2
.LBB7_261:                              ;   in Loop: Header=BB7_253 Depth=2
	s_or_b64 exec, exec, s[68:69]
	s_mov_b64 s[72:73], -1
	s_and_saveexec_b64 s[68:69], s[70:71]
	s_cbranch_execz .LBB7_252
; %bb.262:                              ;   in Loop: Header=BB7_253 Depth=2
	scratch_load_dwordx2 v[2:3], v7, off
	v_lshl_add_u32 v4, v0, 3, v1
	v_add_u32_e32 v40, 1, v40
	v_readlane_b32 s76, v79, 30
	v_add_u32_e32 v8, 1, v1
	v_ashrrev_i32_e32 v5, 31, v4
	v_cmp_ge_i32_e32 vcc, v40, v6
	v_readlane_b32 s78, v79, 32
	v_readlane_b32 s79, v79, 33
	v_add_u32_e32 v7, 8, v7
	s_xor_b64 s[72:73], exec, -1
	v_lshl_add_u64 v[4:5], v[4:5], 3, s[78:79]
	s_orn2_b64 s[66:67], vcc, exec
	v_mov_b32_e32 v1, v8
	v_readlane_b32 s77, v79, 31
	v_readlane_b32 s80, v79, 34
	;; [unrolled: 1-line block ×5, first 2 shown]
	s_waitcnt vmcnt(0)
	global_store_dwordx2 v[4:5], v[2:3], off
	s_branch .LBB7_252
.LBB7_263:                              ;   in Loop: Header=BB7_15 Depth=1
	s_or_b64 exec, exec, s[56:57]
	s_and_b64 s[62:63], s[60:61], exec
	s_and_b64 s[58:59], s[58:59], exec
	s_xor_b64 s[60:61], exec, -1
	s_orn2_b64 s[56:57], s[0:1], exec
.LBB7_264:                              ;   in Loop: Header=BB7_15 Depth=1
	s_or_b64 exec, exec, s[54:55]
	s_and_b64 s[64:65], s[62:63], exec
	s_and_b64 s[62:63], s[58:59], exec
	s_orn2_b64 s[54:55], s[60:61], exec
	s_and_b64 s[58:59], s[56:57], exec
.LBB7_265:                              ;   in Loop: Header=BB7_15 Depth=1
	s_or_b64 exec, exec, s[52:53]
	s_and_b64 s[60:61], s[64:65], exec
	s_and_b64 s[56:57], s[62:63], exec
	;; [unrolled: 1-line block ×3, first 2 shown]
	s_xor_b64 s[52:53], exec, -1
	s_and_b64 s[78:79], s[58:59], exec
.LBB7_266:                              ;   in Loop: Header=BB7_15 Depth=1
	s_or_b64 exec, exec, s[24:25]
	s_andn2_b64 s[76:77], s[50:51], exec
	s_and_b64 s[74:75], s[60:61], exec
	s_and_b64 s[72:73], s[56:57], exec
	;; [unrolled: 1-line block ×4, first 2 shown]
	s_andn2_b64 s[66:67], s[48:49], exec
	s_andn2_b64 s[64:65], s[28:29], exec
	;; [unrolled: 1-line block ×10, first 2 shown]
	s_and_b64 s[80:81], s[78:79], exec
.LBB7_267:                              ;   in Loop: Header=BB7_15 Depth=1
	s_andn2_saveexec_b64 s[2:3], s[2:3]
	s_cbranch_execz .LBB7_269
; %bb.268:                              ;   in Loop: Header=BB7_15 Depth=1
	v_readlane_b32 s92, v79, 30
	v_readlane_b32 s98, v79, 36
	;; [unrolled: 1-line block ×3, first 2 shown]
	s_or_b64 s[80:81], s[80:81], exec
	v_readlane_b32 s93, v79, 31
	v_lshl_add_u64 v[0:1], v[62:63], 2, s[98:99]
	v_readlane_b32 s94, v79, 32
	v_readlane_b32 s95, v79, 33
	;; [unrolled: 1-line block ×4, first 2 shown]
	global_store_dword v[0:1], v91, off
.LBB7_269:                              ;   in Loop: Header=BB7_15 Depth=1
	s_or_b64 exec, exec, s[2:3]
	s_mov_b64 s[2:3], -1
	s_mov_b64 s[78:79], 0
	s_and_saveexec_b64 s[82:83], s[80:81]
	s_cbranch_execz .LBB7_2
; %bb.270:                              ;   in Loop: Header=BB7_15 Depth=1
	v_readlane_b32 s2, v79, 12
	s_mov_b64 s[78:79], exec
	s_andn2_b64 s[76:77], s[76:77], exec
	v_add_u32_e32 v62, s2, v62
	v_readlane_b32 s2, v79, 14
	s_andn2_b64 s[74:75], s[74:75], exec
	s_andn2_b64 s[72:73], s[72:73], exec
	v_cmp_le_i32_e32 vcc, s2, v62
	s_andn2_b64 s[70:71], s[70:71], exec
	s_andn2_b64 s[68:69], s[68:69], exec
	;; [unrolled: 1-line block ×12, first 2 shown]
	s_orn2_b64 s[2:3], vcc, exec
	s_branch .LBB7_2
.LBB7_271:
	v_readlane_b32 s0, v79, 16
	v_readlane_b32 s1, v79, 17
	s_or_b64 exec, exec, s[0:1]
	v_readlane_b32 s0, v79, 47
	v_readlane_b32 s1, v79, 48
	s_mov_b64 s[2:3], -1
	s_xor_b64 s[0:1], s[0:1], -1
	s_mov_b64 s[4:5], 0
	s_mov_b64 s[6:7], 0
	;; [unrolled: 1-line block ×28, first 2 shown]
	s_mov_b64 s[22:23], exec
	v_readlane_b32 s16, v78, 37
	v_readlane_b32 s17, v78, 38
	s_and_b64 s[16:17], s[22:23], s[16:17]
	s_mov_b64 exec, s[16:17]
	s_cbranch_execz .LBB7_331
; %bb.272:
	s_mov_b64 s[6:7], -1
	s_mov_b64 s[16:17], 0
	s_mov_b64 s[26:27], 0
	;; [unrolled: 1-line block ×7, first 2 shown]
	s_mov_b64 s[24:25], exec
	v_readlane_b32 s2, v78, 35
	v_readlane_b32 s3, v78, 36
	s_and_b64 s[2:3], s[24:25], s[2:3]
	s_mov_b64 exec, s[2:3]
	s_cbranch_execz .LBB7_330
; %bb.273:
	s_mov_b64 s[4:5], -1
	s_mov_b64 s[2:3], 0
	s_mov_b64 s[26:27], exec
	v_readlane_b32 s6, v78, 33
	v_readlane_b32 s7, v78, 34
	s_and_b64 s[6:7], s[26:27], s[6:7]
	s_mov_b64 exec, s[6:7]
	s_cbranch_execz .LBB7_329
; %bb.274:
	s_mov_b64 s[6:7], -1
	s_mov_b64 s[28:29], exec
	v_readlane_b32 s4, v78, 31
	v_readlane_b32 s5, v78, 32
	s_and_b64 s[4:5], s[28:29], s[4:5]
	s_mov_b64 exec, s[4:5]
	s_cbranch_execz .LBB7_328
; %bb.275:
	s_mov_b64 s[4:5], -1
	s_mov_b64 s[34:35], exec
	v_readlane_b32 s6, v78, 29
	v_readlane_b32 s7, v78, 30
	s_and_b64 s[6:7], s[34:35], s[6:7]
	s_mov_b64 exec, s[6:7]
	s_cbranch_execz .LBB7_327
; %bb.276:
	s_mov_b64 s[6:7], -1
	s_mov_b64 s[36:37], exec
	v_readlane_b32 s4, v78, 27
	v_readlane_b32 s5, v78, 28
	s_and_b64 s[4:5], s[36:37], s[4:5]
	s_mov_b64 exec, s[4:5]
	s_cbranch_execz .LBB7_326
; %bb.277:
	s_mov_b64 s[4:5], -1
	s_mov_b64 s[38:39], exec
	v_readlane_b32 s6, v78, 25
	v_readlane_b32 s7, v78, 26
	s_and_b64 s[6:7], s[38:39], s[6:7]
	s_mov_b64 exec, s[6:7]
	s_cbranch_execz .LBB7_325
; %bb.278:
	s_mov_b64 s[6:7], -1
	s_mov_b64 s[40:41], exec
	v_readlane_b32 s4, v78, 23
	v_readlane_b32 s5, v78, 24
	s_and_b64 s[4:5], s[40:41], s[4:5]
	s_mov_b64 exec, s[4:5]
	s_cbranch_execz .LBB7_324
; %bb.279:
	s_mov_b64 s[4:5], -1
	s_mov_b64 s[42:43], exec
	v_readlane_b32 s6, v78, 21
	v_readlane_b32 s7, v78, 22
	s_and_b64 s[6:7], s[42:43], s[6:7]
	s_mov_b64 exec, s[6:7]
	s_cbranch_execz .LBB7_323
; %bb.280:
	s_mov_b64 s[6:7], -1
	s_mov_b64 s[44:45], exec
	v_readlane_b32 s4, v78, 19
	v_readlane_b32 s5, v78, 20
	s_and_b64 s[4:5], s[44:45], s[4:5]
	s_mov_b64 exec, s[4:5]
	s_cbranch_execz .LBB7_322
; %bb.281:
	s_mov_b64 s[4:5], -1
	s_mov_b64 s[46:47], exec
	v_readlane_b32 s6, v78, 17
	v_readlane_b32 s7, v78, 18
	s_and_b64 s[6:7], s[46:47], s[6:7]
	s_mov_b64 exec, s[6:7]
	s_cbranch_execz .LBB7_321
; %bb.282:
	s_mov_b64 s[6:7], -1
	s_mov_b64 s[48:49], exec
	v_readlane_b32 s4, v78, 15
	v_readlane_b32 s5, v78, 16
	s_and_b64 s[4:5], s[48:49], s[4:5]
	s_mov_b64 exec, s[4:5]
	s_cbranch_execz .LBB7_320
; %bb.283:
	s_mov_b64 s[4:5], -1
	s_mov_b64 s[50:51], exec
	v_readlane_b32 s6, v78, 13
	v_readlane_b32 s7, v78, 14
	s_and_b64 s[6:7], s[50:51], s[6:7]
	s_mov_b64 exec, s[6:7]
	s_cbranch_execz .LBB7_319
; %bb.284:
	s_mov_b64 s[6:7], -1
	s_mov_b64 s[52:53], exec
	v_readlane_b32 s4, v78, 11
	v_readlane_b32 s5, v78, 12
	s_and_b64 s[4:5], s[52:53], s[4:5]
	s_mov_b64 exec, s[4:5]
	s_cbranch_execz .LBB7_318
; %bb.285:
	s_mov_b64 s[4:5], -1
	s_mov_b64 s[54:55], exec
	v_readlane_b32 s6, v78, 9
	v_readlane_b32 s7, v78, 10
	s_and_b64 s[6:7], s[54:55], s[6:7]
	s_mov_b64 exec, s[6:7]
	s_cbranch_execz .LBB7_317
; %bb.286:
	s_mov_b64 s[6:7], -1
	s_mov_b64 s[56:57], exec
	v_readlane_b32 s4, v78, 7
	v_readlane_b32 s5, v78, 8
	s_and_b64 s[4:5], s[56:57], s[4:5]
	s_mov_b64 exec, s[4:5]
	s_cbranch_execz .LBB7_316
; %bb.287:
	s_mov_b64 s[4:5], -1
	s_mov_b64 s[58:59], exec
	v_readlane_b32 s6, v78, 5
	v_readlane_b32 s7, v78, 6
	s_and_b64 s[6:7], s[58:59], s[6:7]
	s_mov_b64 exec, s[6:7]
	s_cbranch_execz .LBB7_315
; %bb.288:
	s_mov_b64 s[6:7], -1
	s_mov_b64 s[60:61], exec
	v_readlane_b32 s4, v78, 3
	v_readlane_b32 s5, v78, 4
	s_and_b64 s[4:5], s[60:61], s[4:5]
	s_mov_b64 exec, s[4:5]
	s_cbranch_execz .LBB7_314
; %bb.289:
	s_mov_b64 s[4:5], -1
	s_mov_b64 s[62:63], exec
	v_readlane_b32 s6, v78, 1
	v_readlane_b32 s7, v78, 2
	s_and_b64 s[6:7], s[62:63], s[6:7]
	s_mov_b64 exec, s[6:7]
	s_cbranch_execz .LBB7_313
; %bb.290:
	s_mov_b64 s[6:7], -1
	s_mov_b64 s[64:65], exec
	v_readlane_b32 s4, v79, 63
	v_readlane_b32 s5, v78, 0
	s_and_b64 s[4:5], s[64:65], s[4:5]
	s_mov_b64 exec, s[4:5]
	s_cbranch_execz .LBB7_312
; %bb.291:
	s_mov_b64 s[4:5], -1
	s_mov_b64 s[66:67], exec
	v_readlane_b32 s6, v79, 61
	v_readlane_b32 s7, v79, 62
	s_and_b64 s[6:7], s[66:67], s[6:7]
	s_mov_b64 exec, s[6:7]
	s_cbranch_execz .LBB7_311
; %bb.292:
	s_mov_b64 s[6:7], -1
	s_mov_b64 s[68:69], exec
	v_readlane_b32 s4, v79, 59
	v_readlane_b32 s5, v79, 60
	s_and_b64 s[4:5], s[68:69], s[4:5]
	s_mov_b64 exec, s[4:5]
	s_cbranch_execz .LBB7_310
; %bb.293:
	s_mov_b64 s[4:5], -1
	s_mov_b64 s[70:71], exec
	v_readlane_b32 s6, v79, 57
	v_readlane_b32 s7, v79, 58
	s_and_b64 s[6:7], s[70:71], s[6:7]
	s_mov_b64 exec, s[6:7]
	s_cbranch_execz .LBB7_309
; %bb.294:
	s_mov_b64 s[6:7], -1
	s_mov_b64 s[72:73], exec
	v_readlane_b32 s4, v79, 55
	v_readlane_b32 s5, v79, 56
	s_and_b64 s[4:5], s[72:73], s[4:5]
	s_mov_b64 exec, s[4:5]
	s_cbranch_execz .LBB7_308
; %bb.295:
	s_mov_b64 s[4:5], -1
	s_mov_b64 s[74:75], exec
	v_readlane_b32 s6, v79, 53
	v_readlane_b32 s7, v79, 54
	s_and_b64 s[6:7], s[74:75], s[6:7]
	s_mov_b64 exec, s[6:7]
	s_cbranch_execz .LBB7_307
; %bb.296:
	s_mov_b64 s[6:7], -1
	s_mov_b64 s[76:77], exec
	v_readlane_b32 s4, v79, 51
	v_readlane_b32 s5, v79, 52
	s_and_b64 s[4:5], s[76:77], s[4:5]
	s_mov_b64 exec, s[4:5]
	s_cbranch_execz .LBB7_306
; %bb.297:
	s_mov_b64 s[4:5], -1
	s_mov_b64 s[6:7], 0
	s_mov_b64 s[78:79], exec
	v_readlane_b32 s8, v79, 49
	v_readlane_b32 s9, v79, 50
	s_and_b64 s[8:9], s[78:79], s[8:9]
	s_mov_b64 exec, s[8:9]
	s_cbranch_execz .LBB7_305
; %bb.298:
	s_mov_b64 s[2:3], -1
	s_mov_b64 s[4:5], 0
	s_and_saveexec_b64 s[6:7], s[86:87]
	s_xor_b64 s[80:81], exec, s[6:7]
	s_cbranch_execz .LBB7_304
; %bb.299:
	s_and_saveexec_b64 s[2:3], s[0:1]
	s_xor_b64 s[82:83], exec, s[2:3]
	s_cbranch_execz .LBB7_301
; %bb.300:
	s_mov_b64 s[0:1], s[84:85]
	s_add_u32 s8, s0, 0x80
	s_addc_u32 s9, s1, 0
	s_getpc_b64 s[0:1]
	s_add_u32 s0, s0, .str.15@rel32@lo+4
	s_addc_u32 s1, s1, .str.15@rel32@hi+12
	s_getpc_b64 s[2:3]
	s_add_u32 s2, s2, .str.16@rel32@lo+4
	s_addc_u32 s3, s3, .str.16@rel32@hi+12
	s_getpc_b64 s[4:5]
	s_add_u32 s4, s4, __PRETTY_FUNCTION__._ZN3sop10minatoIsopEPKjiP7VecsMemIjLi8192EE@rel32@lo+4
	s_addc_u32 s5, s5, __PRETTY_FUNCTION__._ZN3sop10minatoIsopEPKjiP7VecsMemIjLi8192EE@rel32@hi+12
	s_getpc_b64 s[6:7]
	s_add_u32 s6, s6, __assert_fail@rel32@lo+4
	s_addc_u32 s7, s7, __assert_fail@rel32@hi+12
	v_mov_b32_e32 v0, s0
	v_mov_b32_e32 v1, s1
	;; [unrolled: 1-line block ×6, first 2 shown]
	s_waitcnt vmcnt(0)
	v_mov_b32_e32 v6, s5
	s_swappc_b64 s[30:31], s[6:7]
.LBB7_301:
	s_andn2_saveexec_b64 s[82:83], s[82:83]
	s_cbranch_execz .LBB7_303
; %bb.302:
	s_mov_b64 s[0:1], s[84:85]
	s_add_u32 s8, s0, 0x80
	s_addc_u32 s9, s1, 0
	s_getpc_b64 s[0:1]
	s_add_u32 s0, s0, .str.15@rel32@lo+4
	s_addc_u32 s1, s1, .str.15@rel32@hi+12
	s_getpc_b64 s[2:3]
	s_add_u32 s2, s2, .str.16@rel32@lo+4
	s_addc_u32 s3, s3, .str.16@rel32@hi+12
	s_getpc_b64 s[4:5]
	s_add_u32 s4, s4, __PRETTY_FUNCTION__._ZN3sop10minatoIsopEPKjiP7VecsMemIjLi8192EE@rel32@lo+4
	s_addc_u32 s5, s5, __PRETTY_FUNCTION__._ZN3sop10minatoIsopEPKjiP7VecsMemIjLi8192EE@rel32@hi+12
	s_getpc_b64 s[6:7]
	s_add_u32 s6, s6, __assert_fail@rel32@lo+4
	s_addc_u32 s7, s7, __assert_fail@rel32@hi+12
	v_mov_b32_e32 v0, s0
	v_mov_b32_e32 v1, s1
	;; [unrolled: 1-line block ×6, first 2 shown]
	s_waitcnt vmcnt(0)
	v_mov_b32_e32 v6, s5
	s_swappc_b64 s[30:31], s[6:7]
.LBB7_303:
	s_or_b64 exec, exec, s[82:83]
	s_mov_b64 s[4:5], exec
	s_xor_b64 s[2:3], exec, -1
.LBB7_304:
	s_or_b64 exec, exec, s[80:81]
	s_and_b64 s[6:7], s[4:5], exec
	s_xor_b64 s[4:5], exec, -1
	s_and_b64 s[2:3], s[2:3], exec
.LBB7_305:
	s_or_b64 exec, exec, s[78:79]
	s_and_b64 s[8:9], s[6:7], exec
	s_xor_b64 s[6:7], exec, -1
	s_and_b64 s[12:13], s[4:5], exec
	s_and_b64 s[2:3], s[2:3], exec
.LBB7_306:
	s_or_b64 exec, exec, s[76:77]
	s_and_b64 s[10:11], s[8:9], exec
	s_xor_b64 s[4:5], exec, -1
	s_and_b64 s[8:9], s[6:7], exec
	s_and_b64 s[12:13], s[12:13], exec
	;; [unrolled: 1-line block ×3, first 2 shown]
.LBB7_307:
	s_or_b64 exec, exec, s[74:75]
	s_and_b64 s[16:17], s[10:11], exec
	s_xor_b64 s[6:7], exec, -1
	s_and_b64 s[10:11], s[4:5], exec
	s_and_b64 s[8:9], s[8:9], exec
	;; [unrolled: 1-line block ×4, first 2 shown]
.LBB7_308:
	s_or_b64 exec, exec, s[72:73]
	s_and_b64 s[18:19], s[16:17], exec
	s_xor_b64 s[4:5], exec, -1
	s_and_b64 s[12:13], s[6:7], exec
	s_and_b64 s[10:11], s[10:11], exec
	;; [unrolled: 1-line block ×5, first 2 shown]
.LBB7_309:
	s_or_b64 exec, exec, s[70:71]
	s_and_b64 s[18:19], s[18:19], exec
	s_xor_b64 s[6:7], exec, -1
	s_and_b64 s[14:15], s[4:5], exec
	s_and_b64 s[12:13], s[12:13], exec
	;; [unrolled: 1-line block ×6, first 2 shown]
.LBB7_310:
	s_or_b64 exec, exec, s[68:69]
	s_and_b64 s[20:21], s[18:19], exec
	s_xor_b64 s[4:5], exec, -1
	s_and_b64 s[18:19], s[6:7], exec
	s_and_b64 s[14:15], s[14:15], exec
	;; [unrolled: 1-line block ×7, first 2 shown]
.LBB7_311:
	s_or_b64 exec, exec, s[66:67]
	s_and_b64 s[30:31], s[20:21], exec
	s_xor_b64 s[6:7], exec, -1
	s_and_b64 s[20:21], s[4:5], exec
	s_and_b64 s[18:19], s[18:19], exec
	;; [unrolled: 1-line block ×8, first 2 shown]
.LBB7_312:
	s_or_b64 exec, exec, s[64:65]
	s_and_b64 s[30:31], s[30:31], exec
	s_xor_b64 s[4:5], exec, -1
	s_and_b64 s[64:65], s[6:7], exec
	s_and_b64 s[20:21], s[20:21], exec
	s_and_b64 s[18:19], s[18:19], exec
	s_and_b64 s[14:15], s[14:15], exec
	s_and_b64 s[12:13], s[12:13], exec
	s_and_b64 s[10:11], s[10:11], exec
	s_and_b64 s[8:9], s[8:9], exec
	s_and_b64 s[16:17], s[16:17], exec
	s_and_b64 s[2:3], s[2:3], exec
.LBB7_313:
	s_or_b64 exec, exec, s[62:63]
	s_and_b64 s[30:31], s[30:31], exec
	s_xor_b64 s[6:7], exec, -1
	s_and_b64 s[62:63], s[4:5], exec
	s_and_b64 s[64:65], s[64:65], exec
	;; [unrolled: 1-line block ×10, first 2 shown]
.LBB7_314:
	s_or_b64 exec, exec, s[60:61]
	s_and_b64 s[60:61], s[30:31], exec
	s_xor_b64 s[4:5], exec, -1
	s_and_b64 s[30:31], s[6:7], exec
	s_and_b64 s[62:63], s[62:63], exec
	;; [unrolled: 1-line block ×11, first 2 shown]
.LBB7_315:
	s_or_b64 exec, exec, s[58:59]
	s_and_b64 s[66:67], s[60:61], exec
	s_xor_b64 s[6:7], exec, -1
	s_and_b64 s[60:61], s[4:5], exec
	s_and_b64 s[30:31], s[30:31], exec
	;; [unrolled: 1-line block ×12, first 2 shown]
.LBB7_316:
	s_or_b64 exec, exec, s[56:57]
	s_and_b64 s[56:57], s[66:67], exec
	s_xor_b64 s[4:5], exec, -1
	s_and_b64 s[66:67], s[6:7], exec
	s_and_b64 s[60:61], s[60:61], exec
	;; [unrolled: 1-line block ×13, first 2 shown]
.LBB7_317:
	s_or_b64 exec, exec, s[54:55]
	s_and_b64 s[64:65], s[56:57], exec
	s_xor_b64 s[6:7], exec, -1
	s_and_b64 s[56:57], s[4:5], exec
	s_and_b64 s[54:55], s[66:67], exec
	;; [unrolled: 1-line block ×14, first 2 shown]
.LBB7_318:
	s_or_b64 exec, exec, s[52:53]
	s_and_b64 s[64:65], s[64:65], exec
	s_xor_b64 s[4:5], exec, -1
	s_and_b64 s[68:69], s[6:7], exec
	s_and_b64 s[56:57], s[56:57], exec
	;; [unrolled: 1-line block ×15, first 2 shown]
.LBB7_319:
	s_or_b64 exec, exec, s[50:51]
	s_and_b64 s[64:65], s[64:65], exec
	s_xor_b64 s[6:7], exec, -1
	s_and_b64 s[66:67], s[4:5], exec
	s_and_b64 s[58:59], s[68:69], exec
	;; [unrolled: 1-line block ×16, first 2 shown]
.LBB7_320:
	s_or_b64 exec, exec, s[48:49]
	s_and_b64 s[64:65], s[64:65], exec
	s_xor_b64 s[4:5], exec, -1
	s_and_b64 s[62:63], s[6:7], exec
	s_and_b64 s[66:67], s[66:67], exec
	;; [unrolled: 1-line block ×17, first 2 shown]
.LBB7_321:
	s_or_b64 exec, exec, s[46:47]
	s_and_b64 s[68:69], s[64:65], exec
	s_xor_b64 s[6:7], exec, -1
	s_and_b64 s[64:65], s[4:5], exec
	s_and_b64 s[62:63], s[62:63], exec
	;; [unrolled: 1-line block ×18, first 2 shown]
.LBB7_322:
	s_or_b64 exec, exec, s[44:45]
	s_and_b64 s[68:69], s[68:69], exec
	s_xor_b64 s[4:5], exec, -1
	s_and_b64 s[60:61], s[6:7], exec
	s_and_b64 s[66:67], s[64:65], exec
	;; [unrolled: 1-line block ×19, first 2 shown]
.LBB7_323:
	s_or_b64 exec, exec, s[42:43]
	s_and_b64 s[68:69], s[68:69], exec
	s_xor_b64 s[6:7], exec, -1
	s_and_b64 s[62:63], s[4:5], exec
	s_and_b64 s[60:61], s[60:61], exec
	;; [unrolled: 1-line block ×20, first 2 shown]
.LBB7_324:
	s_or_b64 exec, exec, s[40:41]
	s_and_b64 s[68:69], s[68:69], exec
	s_xor_b64 s[4:5], exec, -1
	s_and_b64 s[64:65], s[6:7], exec
	s_and_b64 s[62:63], s[62:63], exec
	;; [unrolled: 1-line block ×21, first 2 shown]
.LBB7_325:
	s_or_b64 exec, exec, s[38:39]
	s_and_b64 s[68:69], s[68:69], exec
	s_xor_b64 s[6:7], exec, -1
	s_and_b64 s[66:67], s[4:5], exec
	s_and_b64 s[64:65], s[64:65], exec
	;; [unrolled: 1-line block ×22, first 2 shown]
.LBB7_326:
	s_or_b64 exec, exec, s[36:37]
	s_and_b64 s[68:69], s[68:69], exec
	s_xor_b64 s[4:5], exec, -1
	s_and_b64 s[58:59], s[6:7], exec
	s_and_b64 s[56:57], s[66:67], exec
	;; [unrolled: 1-line block ×23, first 2 shown]
.LBB7_327:
	s_or_b64 exec, exec, s[34:35]
	s_and_b64 s[68:69], s[68:69], exec
	s_xor_b64 s[6:7], exec, -1
	s_and_b64 s[60:61], s[4:5], exec
	s_and_b64 s[58:59], s[58:59], exec
	;; [unrolled: 1-line block ×24, first 2 shown]
.LBB7_328:
	s_or_b64 exec, exec, s[28:29]
	s_and_b64 s[66:67], s[68:69], exec
	s_xor_b64 s[4:5], exec, -1
	s_and_b64 s[70:71], s[6:7], exec
	s_and_b64 s[60:61], s[60:61], exec
	;; [unrolled: 1-line block ×25, first 2 shown]
.LBB7_329:
	s_or_b64 exec, exec, s[26:27]
	s_and_b64 s[68:69], s[66:67], exec
	s_xor_b64 s[6:7], exec, -1
	s_and_b64 s[66:67], s[4:5], exec
	s_and_b64 s[62:63], s[70:71], exec
	;; [unrolled: 1-line block ×26, first 2 shown]
.LBB7_330:
	s_or_b64 exec, exec, s[24:25]
	s_and_b64 s[24:25], s[68:69], exec
	s_xor_b64 s[2:3], exec, -1
	s_and_b64 s[76:77], s[6:7], exec
	s_and_b64 s[74:75], s[66:67], exec
	;; [unrolled: 1-line block ×27, first 2 shown]
.LBB7_331:
	s_or_b64 exec, exec, s[22:23]
	s_and_b64 s[22:23], s[24:25], exec
	s_and_b64 s[24:25], s[2:3], exec
	;; [unrolled: 1-line block ×28, first 2 shown]
	s_orn2_b64 s[2:3], s[4:5], exec
.LBB7_332:
	v_readlane_b32 s4, v79, 2
	v_readlane_b32 s5, v79, 3
	s_or_b64 exec, exec, s[4:5]
	s_and_saveexec_b64 s[4:5], s[2:3]
	s_or_b64 exec, exec, s[4:5]
	s_and_saveexec_b64 s[2:3], s[0:1]
	s_xor_b64 s[80:81], exec, s[2:3]
	s_cbranch_execnz .LBB7_366
; %bb.333:
	s_or_b64 exec, exec, s[80:81]
	s_and_saveexec_b64 s[0:1], s[78:79]
	s_xor_b64 s[78:79], exec, s[0:1]
	s_cbranch_execnz .LBB7_367
.LBB7_334:
	s_or_b64 exec, exec, s[78:79]
	s_and_saveexec_b64 s[0:1], s[76:77]
	s_xor_b64 s[76:77], exec, s[0:1]
	s_cbranch_execnz .LBB7_368
.LBB7_335:
	s_or_b64 exec, exec, s[76:77]
	s_and_saveexec_b64 s[0:1], s[74:75]
	s_xor_b64 s[74:75], exec, s[0:1]
	s_cbranch_execnz .LBB7_369
.LBB7_336:
	s_or_b64 exec, exec, s[74:75]
	s_and_saveexec_b64 s[0:1], s[72:73]
	s_xor_b64 s[72:73], exec, s[0:1]
	s_cbranch_execnz .LBB7_370
.LBB7_337:
	s_or_b64 exec, exec, s[72:73]
	s_and_saveexec_b64 s[0:1], s[70:71]
	s_xor_b64 s[70:71], exec, s[0:1]
	s_cbranch_execnz .LBB7_371
.LBB7_338:
	s_or_b64 exec, exec, s[70:71]
	s_and_saveexec_b64 s[0:1], s[68:69]
	s_xor_b64 s[68:69], exec, s[0:1]
	s_cbranch_execnz .LBB7_372
.LBB7_339:
	s_or_b64 exec, exec, s[68:69]
	s_and_saveexec_b64 s[68:69], s[66:67]
	s_cbranch_execnz .LBB7_373
.LBB7_340:
	s_or_b64 exec, exec, s[68:69]
	s_and_saveexec_b64 s[0:1], s[62:63]
	s_xor_b64 s[62:63], exec, s[0:1]
	s_cbranch_execnz .LBB7_374
.LBB7_341:
	s_or_b64 exec, exec, s[62:63]
	s_and_saveexec_b64 s[62:63], s[64:65]
	s_cbranch_execnz .LBB7_375
.LBB7_342:
	s_or_b64 exec, exec, s[62:63]
	s_and_saveexec_b64 s[0:1], s[60:61]
	s_xor_b64 s[60:61], exec, s[0:1]
	s_cbranch_execnz .LBB7_736
.LBB7_343:
	s_or_b64 exec, exec, s[60:61]
	s_and_saveexec_b64 s[0:1], s[58:59]
	s_xor_b64 s[58:59], exec, s[0:1]
	s_cbranch_execnz .LBB7_737
.LBB7_344:
	s_or_b64 exec, exec, s[58:59]
	s_and_saveexec_b64 s[0:1], s[56:57]
	s_xor_b64 s[56:57], exec, s[0:1]
	s_cbranch_execz .LBB7_346
.LBB7_345:
	s_add_u32 s8, s84, 0x80
	s_addc_u32 s9, s85, 0
	s_getpc_b64 s[0:1]
	s_add_u32 s0, s0, .str.17@rel32@lo+4
	s_addc_u32 s1, s1, .str.17@rel32@hi+12
	s_getpc_b64 s[2:3]
	s_add_u32 s2, s2, .str.16@rel32@lo+4
	s_addc_u32 s3, s3, .str.16@rel32@hi+12
	s_getpc_b64 s[4:5]
	s_add_u32 s4, s4, __PRETTY_FUNCTION__._ZN3sop10minatoIsopEPKjiP7VecsMemIjLi8192EE@rel32@lo+4
	s_addc_u32 s5, s5, __PRETTY_FUNCTION__._ZN3sop10minatoIsopEPKjiP7VecsMemIjLi8192EE@rel32@hi+12
	s_getpc_b64 s[6:7]
	s_add_u32 s6, s6, __assert_fail@rel32@lo+4
	s_addc_u32 s7, s7, __assert_fail@rel32@hi+12
	v_mov_b32_e32 v0, s0
	v_mov_b32_e32 v1, s1
	;; [unrolled: 1-line block ×6, first 2 shown]
	s_waitcnt vmcnt(0)
	v_mov_b32_e32 v6, s5
	s_swappc_b64 s[30:31], s[6:7]
	s_or_b64 s[22:23], s[22:23], exec
.LBB7_346:
	s_or_b64 exec, exec, s[56:57]
	s_and_saveexec_b64 s[56:57], s[54:55]
	s_cbranch_execnz .LBB7_397
; %bb.347:
	s_or_b64 exec, exec, s[56:57]
	s_and_saveexec_b64 s[0:1], s[52:53]
	s_xor_b64 s[52:53], exec, s[0:1]
	s_cbranch_execnz .LBB7_766
.LBB7_348:
	s_or_b64 exec, exec, s[52:53]
	s_and_saveexec_b64 s[0:1], s[50:51]
	s_xor_b64 s[50:51], exec, s[0:1]
	s_cbranch_execz .LBB7_350
.LBB7_349:
	s_add_u32 s8, s84, 0x80
	s_addc_u32 s9, s85, 0
	s_getpc_b64 s[0:1]
	s_add_u32 s0, s0, .str.2@rel32@lo+4
	s_addc_u32 s1, s1, .str.2@rel32@hi+12
	s_getpc_b64 s[2:3]
	s_add_u32 s2, s2, .str.1@rel32@lo+4
	s_addc_u32 s3, s3, .str.1@rel32@hi+12
	s_getpc_b64 s[4:5]
	s_add_u32 s4, s4, __PRETTY_FUNCTION__._Z12evaluateSubgiPiPKiiiiS1_PKyPKjiPKN8subgUtil4SubgILi256EEE@rel32@lo+4
	s_addc_u32 s5, s5, __PRETTY_FUNCTION__._Z12evaluateSubgiPiPKiiiiS1_PKyPKjiPKN8subgUtil4SubgILi256EEE@rel32@hi+12
	s_getpc_b64 s[6:7]
	s_add_u32 s6, s6, __assert_fail@rel32@lo+4
	s_addc_u32 s7, s7, __assert_fail@rel32@hi+12
	v_mov_b32_e32 v0, s0
	v_mov_b32_e32 v1, s1
	;; [unrolled: 1-line block ×6, first 2 shown]
	s_waitcnt vmcnt(0)
	v_mov_b32_e32 v6, s5
	s_swappc_b64 s[30:31], s[6:7]
	s_or_b64 s[22:23], s[22:23], exec
.LBB7_350:
	s_or_b64 exec, exec, s[50:51]
	s_and_saveexec_b64 s[0:1], s[48:49]
	s_xor_b64 s[48:49], exec, s[0:1]
	s_cbranch_execz .LBB7_352
; %bb.351:
	s_add_u32 s8, s84, 0x80
	s_addc_u32 s9, s85, 0
	s_getpc_b64 s[0:1]
	s_add_u32 s0, s0, .str@rel32@lo+4
	s_addc_u32 s1, s1, .str@rel32@hi+12
	s_getpc_b64 s[2:3]
	s_add_u32 s2, s2, .str.1@rel32@lo+4
	s_addc_u32 s3, s3, .str.1@rel32@hi+12
	s_getpc_b64 s[4:5]
	s_add_u32 s4, s4, __PRETTY_FUNCTION__._Z12evaluateSubgiPiPKiiiiS1_PKyPKjiPKN8subgUtil4SubgILi256EEE@rel32@lo+4
	s_addc_u32 s5, s5, __PRETTY_FUNCTION__._Z12evaluateSubgiPiPKiiiiS1_PKyPKjiPKN8subgUtil4SubgILi256EEE@rel32@hi+12
	s_getpc_b64 s[6:7]
	s_add_u32 s6, s6, __assert_fail@rel32@lo+4
	s_addc_u32 s7, s7, __assert_fail@rel32@hi+12
	v_mov_b32_e32 v0, s0
	v_mov_b32_e32 v1, s1
	v_mov_b32_e32 v2, s2
	v_mov_b32_e32 v3, s3
	v_mov_b32_e32 v4, 36
	v_mov_b32_e32 v5, s4
	s_waitcnt vmcnt(0)
	v_mov_b32_e32 v6, s5
	s_swappc_b64 s[30:31], s[6:7]
	s_or_b64 s[22:23], s[22:23], exec
.LBB7_352:
	s_or_b64 exec, exec, s[48:49]
	s_and_saveexec_b64 s[0:1], s[46:47]
	s_xor_b64 s[46:47], exec, s[0:1]
	s_cbranch_execz .LBB7_354
; %bb.353:
	s_add_u32 s8, s84, 0x80
	s_addc_u32 s9, s85, 0
	s_getpc_b64 s[0:1]
	s_add_u32 s0, s0, .str.46@rel32@lo+4
	s_addc_u32 s1, s1, .str.46@rel32@hi+12
	s_getpc_b64 s[2:3]
	s_add_u32 s2, s2, .str.44@rel32@lo+4
	s_addc_u32 s3, s3, .str.44@rel32@hi+12
	s_getpc_b64 s[4:5]
	s_add_u32 s4, s4, __PRETTY_FUNCTION__._ZN8subgUtil18formAndNodeKeyFlagEiii@rel32@lo+4
	s_addc_u32 s5, s5, __PRETTY_FUNCTION__._ZN8subgUtil18formAndNodeKeyFlagEiii@rel32@hi+12
	s_getpc_b64 s[6:7]
	s_add_u32 s6, s6, __assert_fail@rel32@lo+4
	s_addc_u32 s7, s7, __assert_fail@rel32@hi+12
	v_mov_b32_e32 v0, s0
	v_mov_b32_e32 v1, s1
	;; [unrolled: 1-line block ×6, first 2 shown]
	s_waitcnt vmcnt(0)
	v_mov_b32_e32 v6, s5
	s_swappc_b64 s[30:31], s[6:7]
	s_or_b64 s[22:23], s[22:23], exec
.LBB7_354:
	s_or_b64 exec, exec, s[46:47]
	s_and_saveexec_b64 s[0:1], s[44:45]
	s_xor_b64 s[44:45], exec, s[0:1]
	s_cbranch_execz .LBB7_356
; %bb.355:
	s_add_u32 s8, s84, 0x80
	s_addc_u32 s9, s85, 0
	s_getpc_b64 s[0:1]
	s_add_u32 s0, s0, .str.32@rel32@lo+4
	s_addc_u32 s1, s1, .str.32@rel32@hi+12
	s_getpc_b64 s[2:3]
	s_add_u32 s2, s2, .str.31@rel32@lo+4
	s_addc_u32 s3, s3, .str.31@rel32@hi+12
	s_getpc_b64 s[4:5]
	s_add_u32 s4, s4, __PRETTY_FUNCTION__._ZN3sop9sopFactorEPjiiPKiiP7VecsMemIjLi8192EEPN8subgUtil4SubgILi256EEE@rel32@lo+4
	s_addc_u32 s5, s5, __PRETTY_FUNCTION__._ZN3sop9sopFactorEPjiiPKiiP7VecsMemIjLi8192EEPN8subgUtil4SubgILi256EEE@rel32@hi+12
	s_getpc_b64 s[6:7]
	s_add_u32 s6, s6, __assert_fail@rel32@lo+4
	s_addc_u32 s7, s7, __assert_fail@rel32@hi+12
	v_mov_b32_e32 v0, s0
	v_mov_b32_e32 v1, s1
	;; [unrolled: 1-line block ×6, first 2 shown]
	s_waitcnt vmcnt(0)
	v_mov_b32_e32 v6, s5
	s_swappc_b64 s[30:31], s[6:7]
	s_or_b64 s[22:23], s[22:23], exec
.LBB7_356:
	s_or_b64 exec, exec, s[44:45]
	s_and_saveexec_b64 s[44:45], s[42:43]
	s_cbranch_execnz .LBB7_419
; %bb.357:
	s_or_b64 exec, exec, s[44:45]
	s_and_saveexec_b64 s[0:1], s[40:41]
	s_xor_b64 s[40:41], exec, s[0:1]
	s_cbranch_execnz .LBB7_795
.LBB7_358:
	s_or_b64 exec, exec, s[40:41]
	s_and_saveexec_b64 s[40:41], s[38:39]
	s_cbranch_execnz .LBB7_796
.LBB7_359:
	s_or_b64 exec, exec, s[40:41]
	s_and_saveexec_b64 s[0:1], s[36:37]
	s_xor_b64 s[36:37], exec, s[0:1]
	s_cbranch_execnz .LBB7_797
.LBB7_360:
	s_or_b64 exec, exec, s[36:37]
	s_and_saveexec_b64 s[0:1], s[34:35]
	s_xor_b64 s[34:35], exec, s[0:1]
	s_cbranch_execnz .LBB7_798
.LBB7_361:
	s_or_b64 exec, exec, s[34:35]
	s_and_saveexec_b64 s[34:35], s[28:29]
	s_cbranch_execnz .LBB7_799
.LBB7_362:
	s_or_b64 exec, exec, s[34:35]
	s_and_saveexec_b64 s[0:1], s[26:27]
	s_xor_b64 s[26:27], exec, s[0:1]
	s_cbranch_execnz .LBB7_938
.LBB7_363:
	s_or_b64 exec, exec, s[26:27]
	s_and_saveexec_b64 s[26:27], s[24:25]
	s_cbranch_execnz .LBB7_939
.LBB7_364:
	s_or_b64 exec, exec, s[26:27]
	s_and_saveexec_b64 s[0:1], s[22:23]
	s_cbranch_execnz .LBB7_940
.LBB7_365:
	s_endpgm
.LBB7_366:
	s_add_u32 s8, s84, 0x80
	s_addc_u32 s9, s85, 0
	s_getpc_b64 s[0:1]
	s_add_u32 s0, s0, .str.11@rel32@lo+4
	s_addc_u32 s1, s1, .str.11@rel32@hi+12
	s_getpc_b64 s[2:3]
	s_add_u32 s2, s2, .str.1@rel32@lo+4
	s_addc_u32 s3, s3, .str.1@rel32@hi+12
	s_getpc_b64 s[4:5]
	s_add_u32 s4, s4, __PRETTY_FUNCTION__._Z8resynCutPKiS0_S0_S0_PKyPKjiS0_PyPiS6_S6_PjS0_S4_ii@rel32@lo+4
	s_addc_u32 s5, s5, __PRETTY_FUNCTION__._Z8resynCutPKiS0_S0_S0_PKyPKjiS0_PyPiS6_S6_PjS0_S4_ii@rel32@hi+12
	s_getpc_b64 s[6:7]
	s_add_u32 s6, s6, __assert_fail@rel32@lo+4
	s_addc_u32 s7, s7, __assert_fail@rel32@hi+12
	v_mov_b32_e32 v0, s0
	v_mov_b32_e32 v1, s1
	;; [unrolled: 1-line block ×6, first 2 shown]
	s_waitcnt vmcnt(0)
	v_mov_b32_e32 v6, s5
	s_swappc_b64 s[30:31], s[6:7]
	s_or_b64 s[22:23], s[22:23], exec
	s_or_b64 exec, exec, s[80:81]
	s_and_saveexec_b64 s[0:1], s[78:79]
	s_xor_b64 s[78:79], exec, s[0:1]
	s_cbranch_execz .LBB7_334
.LBB7_367:
	s_add_u32 s8, s84, 0x80
	s_addc_u32 s9, s85, 0
	s_getpc_b64 s[0:1]
	s_add_u32 s0, s0, .str.10@rel32@lo+4
	s_addc_u32 s1, s1, .str.10@rel32@hi+12
	s_getpc_b64 s[2:3]
	s_add_u32 s2, s2, .str.1@rel32@lo+4
	s_addc_u32 s3, s3, .str.1@rel32@hi+12
	s_getpc_b64 s[4:5]
	s_add_u32 s4, s4, __PRETTY_FUNCTION__._Z8resynCutPKiS0_S0_S0_PKyPKjiS0_PyPiS6_S6_PjS0_S4_ii@rel32@lo+4
	s_addc_u32 s5, s5, __PRETTY_FUNCTION__._Z8resynCutPKiS0_S0_S0_PKyPKjiS0_PyPiS6_S6_PjS0_S4_ii@rel32@hi+12
	s_getpc_b64 s[6:7]
	s_add_u32 s6, s6, __assert_fail@rel32@lo+4
	s_addc_u32 s7, s7, __assert_fail@rel32@hi+12
	v_mov_b32_e32 v0, s0
	v_mov_b32_e32 v1, s1
	;; [unrolled: 1-line block ×6, first 2 shown]
	s_waitcnt vmcnt(0)
	v_mov_b32_e32 v6, s5
	s_swappc_b64 s[30:31], s[6:7]
	s_or_b64 s[22:23], s[22:23], exec
	s_or_b64 exec, exec, s[78:79]
	s_and_saveexec_b64 s[0:1], s[76:77]
	s_xor_b64 s[76:77], exec, s[0:1]
	s_cbranch_execz .LBB7_335
.LBB7_368:
	s_add_u32 s8, s84, 0x80
	s_addc_u32 s9, s85, 0
	s_getpc_b64 s[0:1]
	s_add_u32 s0, s0, .str.9@rel32@lo+4
	s_addc_u32 s1, s1, .str.9@rel32@hi+12
	s_getpc_b64 s[2:3]
	s_add_u32 s2, s2, .str.1@rel32@lo+4
	s_addc_u32 s3, s3, .str.1@rel32@hi+12
	s_getpc_b64 s[4:5]
	s_add_u32 s4, s4, __PRETTY_FUNCTION__._Z8resynCutPKiS0_S0_S0_PKyPKjiS0_PyPiS6_S6_PjS0_S4_ii@rel32@lo+4
	s_addc_u32 s5, s5, __PRETTY_FUNCTION__._Z8resynCutPKiS0_S0_S0_PKyPKjiS0_PyPiS6_S6_PjS0_S4_ii@rel32@hi+12
	s_getpc_b64 s[6:7]
	s_add_u32 s6, s6, __assert_fail@rel32@lo+4
	s_addc_u32 s7, s7, __assert_fail@rel32@hi+12
	v_mov_b32_e32 v0, s0
	v_mov_b32_e32 v1, s1
	;; [unrolled: 1-line block ×6, first 2 shown]
	s_waitcnt vmcnt(0)
	v_mov_b32_e32 v6, s5
	s_swappc_b64 s[30:31], s[6:7]
	s_or_b64 s[22:23], s[22:23], exec
	s_or_b64 exec, exec, s[76:77]
	s_and_saveexec_b64 s[0:1], s[74:75]
	s_xor_b64 s[74:75], exec, s[0:1]
	s_cbranch_execz .LBB7_336
.LBB7_369:
	s_add_u32 s8, s84, 0x80
	s_addc_u32 s9, s85, 0
	s_getpc_b64 s[0:1]
	s_add_u32 s0, s0, .str.8@rel32@lo+4
	s_addc_u32 s1, s1, .str.8@rel32@hi+12
	s_getpc_b64 s[2:3]
	s_add_u32 s2, s2, .str.1@rel32@lo+4
	s_addc_u32 s3, s3, .str.1@rel32@hi+12
	s_getpc_b64 s[4:5]
	s_add_u32 s4, s4, __PRETTY_FUNCTION__._Z8resynCutPKiS0_S0_S0_PKyPKjiS0_PyPiS6_S6_PjS0_S4_ii@rel32@lo+4
	s_addc_u32 s5, s5, __PRETTY_FUNCTION__._Z8resynCutPKiS0_S0_S0_PKyPKjiS0_PyPiS6_S6_PjS0_S4_ii@rel32@hi+12
	s_getpc_b64 s[6:7]
	s_add_u32 s6, s6, __assert_fail@rel32@lo+4
	s_addc_u32 s7, s7, __assert_fail@rel32@hi+12
	v_mov_b32_e32 v0, s0
	v_mov_b32_e32 v1, s1
	;; [unrolled: 1-line block ×6, first 2 shown]
	s_waitcnt vmcnt(0)
	v_mov_b32_e32 v6, s5
	s_swappc_b64 s[30:31], s[6:7]
	s_or_b64 s[22:23], s[22:23], exec
	s_or_b64 exec, exec, s[74:75]
	s_and_saveexec_b64 s[0:1], s[72:73]
	s_xor_b64 s[72:73], exec, s[0:1]
	s_cbranch_execz .LBB7_337
.LBB7_370:
	s_add_u32 s8, s84, 0x80
	s_addc_u32 s9, s85, 0
	s_getpc_b64 s[0:1]
	s_add_u32 s0, s0, .str.2@rel32@lo+4
	s_addc_u32 s1, s1, .str.2@rel32@hi+12
	s_getpc_b64 s[2:3]
	s_add_u32 s2, s2, .str.1@rel32@lo+4
	s_addc_u32 s3, s3, .str.1@rel32@hi+12
	s_getpc_b64 s[4:5]
	s_add_u32 s4, s4, __PRETTY_FUNCTION__._Z12evaluateSubgiPiPKiiiiS1_PKyPKjiPKN8subgUtil4SubgILi256EEE@rel32@lo+4
	s_addc_u32 s5, s5, __PRETTY_FUNCTION__._Z12evaluateSubgiPiPKiiiiS1_PKyPKjiPKN8subgUtil4SubgILi256EEE@rel32@hi+12
	s_getpc_b64 s[6:7]
	s_add_u32 s6, s6, __assert_fail@rel32@lo+4
	s_addc_u32 s7, s7, __assert_fail@rel32@hi+12
	v_mov_b32_e32 v0, s0
	v_mov_b32_e32 v1, s1
	;; [unrolled: 1-line block ×6, first 2 shown]
	s_waitcnt vmcnt(0)
	v_mov_b32_e32 v6, s5
	s_swappc_b64 s[30:31], s[6:7]
	s_or_b64 s[22:23], s[22:23], exec
	s_or_b64 exec, exec, s[72:73]
	s_and_saveexec_b64 s[0:1], s[70:71]
	s_xor_b64 s[70:71], exec, s[0:1]
	s_cbranch_execz .LBB7_338
.LBB7_371:
	s_add_u32 s8, s84, 0x80
	s_addc_u32 s9, s85, 0
	s_getpc_b64 s[0:1]
	s_add_u32 s0, s0, .str@rel32@lo+4
	s_addc_u32 s1, s1, .str@rel32@hi+12
	s_getpc_b64 s[2:3]
	s_add_u32 s2, s2, .str.1@rel32@lo+4
	s_addc_u32 s3, s3, .str.1@rel32@hi+12
	s_getpc_b64 s[4:5]
	s_add_u32 s4, s4, __PRETTY_FUNCTION__._Z12evaluateSubgiPiPKiiiiS1_PKyPKjiPKN8subgUtil4SubgILi256EEE@rel32@lo+4
	s_addc_u32 s5, s5, __PRETTY_FUNCTION__._Z12evaluateSubgiPiPKiiiiS1_PKyPKjiPKN8subgUtil4SubgILi256EEE@rel32@hi+12
	s_getpc_b64 s[6:7]
	s_add_u32 s6, s6, __assert_fail@rel32@lo+4
	s_addc_u32 s7, s7, __assert_fail@rel32@hi+12
	v_mov_b32_e32 v0, s0
	v_mov_b32_e32 v1, s1
	;; [unrolled: 1-line block ×6, first 2 shown]
	s_waitcnt vmcnt(0)
	v_mov_b32_e32 v6, s5
	s_swappc_b64 s[30:31], s[6:7]
	s_or_b64 s[22:23], s[22:23], exec
	s_or_b64 exec, exec, s[70:71]
	s_and_saveexec_b64 s[0:1], s[68:69]
	s_xor_b64 s[68:69], exec, s[0:1]
	s_cbranch_execz .LBB7_339
.LBB7_372:
	s_add_u32 s8, s84, 0x80
	s_addc_u32 s9, s85, 0
	s_getpc_b64 s[0:1]
	s_add_u32 s0, s0, .str.46@rel32@lo+4
	s_addc_u32 s1, s1, .str.46@rel32@hi+12
	s_getpc_b64 s[2:3]
	s_add_u32 s2, s2, .str.44@rel32@lo+4
	s_addc_u32 s3, s3, .str.44@rel32@hi+12
	s_getpc_b64 s[4:5]
	s_add_u32 s4, s4, __PRETTY_FUNCTION__._ZN8subgUtil18formAndNodeKeyFlagEiii@rel32@lo+4
	s_addc_u32 s5, s5, __PRETTY_FUNCTION__._ZN8subgUtil18formAndNodeKeyFlagEiii@rel32@hi+12
	s_getpc_b64 s[6:7]
	s_add_u32 s6, s6, __assert_fail@rel32@lo+4
	s_addc_u32 s7, s7, __assert_fail@rel32@hi+12
	v_mov_b32_e32 v0, s0
	v_mov_b32_e32 v1, s1
	;; [unrolled: 1-line block ×6, first 2 shown]
	s_waitcnt vmcnt(0)
	v_mov_b32_e32 v6, s5
	s_swappc_b64 s[30:31], s[6:7]
	s_or_b64 s[22:23], s[22:23], exec
	s_or_b64 exec, exec, s[68:69]
	s_and_saveexec_b64 s[68:69], s[66:67]
	s_cbranch_execz .LBB7_340
.LBB7_373:
	s_add_u32 s8, s84, 0x80
	s_addc_u32 s9, s85, 0
	s_getpc_b64 s[0:1]
	s_add_u32 s0, s0, .str.32@rel32@lo+4
	s_addc_u32 s1, s1, .str.32@rel32@hi+12
	s_getpc_b64 s[2:3]
	s_add_u32 s2, s2, .str.31@rel32@lo+4
	s_addc_u32 s3, s3, .str.31@rel32@hi+12
	s_getpc_b64 s[4:5]
	s_add_u32 s4, s4, __PRETTY_FUNCTION__._ZN3sop9sopFactorEPjiiPKiiP7VecsMemIjLi8192EEPN8subgUtil4SubgILi256EEE@rel32@lo+4
	s_addc_u32 s5, s5, __PRETTY_FUNCTION__._ZN3sop9sopFactorEPjiiPKiiP7VecsMemIjLi8192EEPN8subgUtil4SubgILi256EEE@rel32@hi+12
	s_getpc_b64 s[6:7]
	s_add_u32 s6, s6, __assert_fail@rel32@lo+4
	s_addc_u32 s7, s7, __assert_fail@rel32@hi+12
	v_mov_b32_e32 v0, s0
	v_mov_b32_e32 v1, s1
	v_mov_b32_e32 v2, s2
	v_mov_b32_e32 v3, s3
	v_mov_b32_e32 v4, 0x21b
	v_mov_b32_e32 v5, s4
	s_waitcnt vmcnt(0)
	v_mov_b32_e32 v6, s5
	s_swappc_b64 s[30:31], s[6:7]
	s_or_b64 s[22:23], s[22:23], exec
	s_or_b64 exec, exec, s[68:69]
	s_and_saveexec_b64 s[0:1], s[62:63]
	s_xor_b64 s[62:63], exec, s[0:1]
	s_cbranch_execz .LBB7_341
.LBB7_374:
	s_add_u32 s8, s84, 0x80
	s_addc_u32 s9, s85, 0
	s_getpc_b64 s[0:1]
	s_add_u32 s0, s0, .str.46@rel32@lo+4
	s_addc_u32 s1, s1, .str.46@rel32@hi+12
	s_getpc_b64 s[2:3]
	s_add_u32 s2, s2, .str.44@rel32@lo+4
	s_addc_u32 s3, s3, .str.44@rel32@hi+12
	s_getpc_b64 s[4:5]
	s_add_u32 s4, s4, __PRETTY_FUNCTION__._ZN8subgUtil18formAndNodeKeyFlagEiii@rel32@lo+4
	s_addc_u32 s5, s5, __PRETTY_FUNCTION__._ZN8subgUtil18formAndNodeKeyFlagEiii@rel32@hi+12
	s_getpc_b64 s[6:7]
	s_add_u32 s6, s6, __assert_fail@rel32@lo+4
	s_addc_u32 s7, s7, __assert_fail@rel32@hi+12
	v_mov_b32_e32 v0, s0
	v_mov_b32_e32 v1, s1
	;; [unrolled: 1-line block ×6, first 2 shown]
	s_waitcnt vmcnt(0)
	v_mov_b32_e32 v6, s5
	s_swappc_b64 s[30:31], s[6:7]
	s_or_b64 s[22:23], s[22:23], exec
	s_or_b64 exec, exec, s[62:63]
	s_and_saveexec_b64 s[62:63], s[64:65]
	s_cbranch_execz .LBB7_342
.LBB7_375:
	v_readlane_b32 s0, v79, 0
	v_readlane_b32 s1, v79, 1
	s_load_dwordx2 s[2:3], s[0:1], 0x50
	v_mbcnt_lo_u32_b32 v0, -1, 0
	v_mbcnt_hi_u32_b32 v32, -1, v0
	v_mov_b64_e32 v[4:5], 0
	v_readfirstlane_b32 s0, v32
	s_nop 1
	v_cmp_eq_u32_e64 s[0:1], s0, v32
	s_and_saveexec_b64 s[4:5], s[0:1]
	s_cbranch_execz .LBB7_381
; %bb.376:
	v_mov_b32_e32 v0, 0
	s_waitcnt lgkmcnt(0)
	global_load_dwordx2 v[6:7], v0, s[2:3] offset:24 sc0 sc1
	s_waitcnt vmcnt(0)
	buffer_inv sc0 sc1
	global_load_dwordx2 v[2:3], v0, s[2:3] offset:40
	global_load_dwordx2 v[4:5], v0, s[2:3]
	s_waitcnt vmcnt(1)
	v_and_b32_e32 v1, v2, v6
	v_and_b32_e32 v2, v3, v7
	v_mul_lo_u32 v2, v2, 24
	v_mul_hi_u32 v3, v1, 24
	v_add_u32_e32 v3, v3, v2
	v_mul_lo_u32 v2, v1, 24
	s_waitcnt vmcnt(0)
	v_lshl_add_u64 v[2:3], v[4:5], 0, v[2:3]
	global_load_dwordx2 v[4:5], v[2:3], off sc0 sc1
	s_waitcnt vmcnt(0)
	global_atomic_cmpswap_x2 v[4:5], v0, v[4:7], s[2:3] offset:24 sc0 sc1
	s_waitcnt vmcnt(0)
	buffer_inv sc0 sc1
	v_cmp_ne_u64_e32 vcc, v[4:5], v[6:7]
	s_and_saveexec_b64 s[6:7], vcc
	s_cbranch_execz .LBB7_380
; %bb.377:
	s_mov_b64 s[8:9], 0
.LBB7_378:                              ; =>This Inner Loop Header: Depth=1
	s_sleep 1
	global_load_dwordx2 v[2:3], v0, s[2:3] offset:40
	global_load_dwordx2 v[8:9], v0, s[2:3]
	v_mov_b64_e32 v[6:7], v[4:5]
	s_waitcnt vmcnt(1)
	v_and_b32_e32 v2, v2, v6
	v_and_b32_e32 v1, v3, v7
	s_waitcnt vmcnt(0)
	v_mad_u64_u32 v[2:3], s[10:11], v2, 24, v[8:9]
	v_mov_b32_e32 v4, v3
	v_mad_u64_u32 v[4:5], s[10:11], v1, 24, v[4:5]
	v_mov_b32_e32 v3, v4
	global_load_dwordx2 v[4:5], v[2:3], off sc0 sc1
	s_waitcnt vmcnt(0)
	global_atomic_cmpswap_x2 v[4:5], v0, v[4:7], s[2:3] offset:24 sc0 sc1
	s_waitcnt vmcnt(0)
	buffer_inv sc0 sc1
	v_cmp_eq_u64_e32 vcc, v[4:5], v[6:7]
	s_or_b64 s[8:9], vcc, s[8:9]
	s_andn2_b64 exec, exec, s[8:9]
	s_cbranch_execnz .LBB7_378
; %bb.379:
	s_or_b64 exec, exec, s[8:9]
.LBB7_380:
	s_or_b64 exec, exec, s[6:7]
.LBB7_381:
	s_or_b64 exec, exec, s[4:5]
	v_mov_b32_e32 v27, 0
	s_waitcnt lgkmcnt(0)
	global_load_dwordx2 v[6:7], v27, s[2:3] offset:40
	global_load_dwordx4 v[0:3], v27, s[2:3]
	v_readfirstlane_b32 s5, v5
	v_readfirstlane_b32 s4, v4
	s_mov_b64 s[6:7], exec
	s_waitcnt vmcnt(1)
	v_readfirstlane_b32 s8, v6
	v_readfirstlane_b32 s9, v7
	s_and_b64 s[8:9], s[8:9], s[4:5]
	s_mul_i32 s10, s9, 24
	s_mul_hi_u32 s11, s8, 24
	s_add_i32 s11, s11, s10
	s_mul_i32 s10, s8, 24
	s_waitcnt vmcnt(0)
	v_lshl_add_u64 v[4:5], v[0:1], 0, s[10:11]
	s_and_saveexec_b64 s[10:11], s[0:1]
	s_cbranch_execz .LBB7_383
; %bb.382:
	v_mov_b64_e32 v[6:7], s[6:7]
	v_mov_b32_e32 v8, 2
	v_mov_b32_e32 v9, 1
	global_store_dwordx4 v[4:5], v[6:9], off offset:8
.LBB7_383:
	s_or_b64 exec, exec, s[10:11]
	s_lshl_b64 s[6:7], s[8:9], 12
	v_lshl_add_u64 v[6:7], v[2:3], 0, s[6:7]
	s_mov_b32 s8, 0
	v_lshlrev_b32_e32 v26, 6, v32
	v_mov_b32_e32 v8, 33
	v_mov_b32_e32 v9, v27
	;; [unrolled: 1-line block ×4, first 2 shown]
	v_readfirstlane_b32 s6, v6
	v_readfirstlane_b32 s7, v7
	s_mov_b32 s9, s8
	s_mov_b32 s10, s8
	;; [unrolled: 1-line block ×3, first 2 shown]
	s_nop 1
	global_store_dwordx4 v26, v[8:11], s[6:7]
	s_nop 1
	v_mov_b64_e32 v[8:9], s[8:9]
	v_mov_b64_e32 v[10:11], s[10:11]
	global_store_dwordx4 v26, v[8:11], s[6:7] offset:16
	global_store_dwordx4 v26, v[8:11], s[6:7] offset:32
	;; [unrolled: 1-line block ×3, first 2 shown]
	s_and_saveexec_b64 s[6:7], s[0:1]
	s_cbranch_execz .LBB7_391
; %bb.384:
	v_mov_b32_e32 v10, 0
	global_load_dwordx2 v[14:15], v10, s[2:3] offset:32 sc0 sc1
	global_load_dwordx2 v[2:3], v10, s[2:3] offset:40
	v_mov_b32_e32 v12, s4
	v_mov_b32_e32 v13, s5
	s_waitcnt vmcnt(0)
	v_and_b32_e32 v2, s4, v2
	v_and_b32_e32 v3, s5, v3
	v_mul_lo_u32 v3, v3, 24
	v_mul_hi_u32 v8, v2, 24
	v_mul_lo_u32 v2, v2, 24
	v_add_u32_e32 v3, v8, v3
	v_lshl_add_u64 v[8:9], v[0:1], 0, v[2:3]
	global_store_dwordx2 v[8:9], v[14:15], off
	buffer_wbl2 sc0 sc1
	s_waitcnt vmcnt(0)
	global_atomic_cmpswap_x2 v[2:3], v10, v[12:15], s[2:3] offset:32 sc0 sc1
	s_waitcnt vmcnt(0)
	v_cmp_ne_u64_e32 vcc, v[2:3], v[14:15]
	s_and_saveexec_b64 s[8:9], vcc
	s_cbranch_execz .LBB7_387
; %bb.385:
	s_mov_b64 s[10:11], 0
.LBB7_386:                              ; =>This Inner Loop Header: Depth=1
	s_sleep 1
	global_store_dwordx2 v[8:9], v[2:3], off
	v_mov_b32_e32 v0, s4
	v_mov_b32_e32 v1, s5
	buffer_wbl2 sc0 sc1
	s_waitcnt vmcnt(0)
	global_atomic_cmpswap_x2 v[0:1], v10, v[0:3], s[2:3] offset:32 sc0 sc1
	s_waitcnt vmcnt(0)
	v_cmp_eq_u64_e32 vcc, v[0:1], v[2:3]
	s_or_b64 s[10:11], vcc, s[10:11]
	v_mov_b64_e32 v[2:3], v[0:1]
	s_andn2_b64 exec, exec, s[10:11]
	s_cbranch_execnz .LBB7_386
.LBB7_387:
	s_or_b64 exec, exec, s[8:9]
	v_mov_b32_e32 v3, 0
	global_load_dwordx2 v[0:1], v3, s[2:3] offset:16
	s_mov_b64 s[8:9], exec
	v_mbcnt_lo_u32_b32 v2, s8, 0
	v_mbcnt_hi_u32_b32 v2, s9, v2
	v_cmp_eq_u32_e32 vcc, 0, v2
	s_and_saveexec_b64 s[10:11], vcc
	s_cbranch_execz .LBB7_389
; %bb.388:
	s_bcnt1_i32_b64 s8, s[8:9]
	v_mov_b32_e32 v2, s8
	buffer_wbl2 sc0 sc1
	s_waitcnt vmcnt(0)
	global_atomic_add_x2 v[0:1], v[2:3], off offset:8 sc1
.LBB7_389:
	s_or_b64 exec, exec, s[10:11]
	s_waitcnt vmcnt(0)
	global_load_dwordx2 v[2:3], v[0:1], off offset:16
	s_waitcnt vmcnt(0)
	v_cmp_eq_u64_e32 vcc, 0, v[2:3]
	s_cbranch_vccnz .LBB7_391
; %bb.390:
	global_load_dword v0, v[0:1], off offset:24
	v_mov_b32_e32 v1, 0
	s_waitcnt vmcnt(0)
	v_readfirstlane_b32 s8, v0
	s_and_b32 m0, s8, 0xffffff
	buffer_wbl2 sc0 sc1
	global_store_dwordx2 v[2:3], v[0:1], off sc0 sc1
	s_sendmsg sendmsg(MSG_INTERRUPT)
.LBB7_391:
	s_or_b64 exec, exec, s[6:7]
	v_lshl_add_u64 v[0:1], v[6:7], 0, v[26:27]
	s_branch .LBB7_395
.LBB7_392:                              ;   in Loop: Header=BB7_395 Depth=1
	s_or_b64 exec, exec, s[6:7]
	v_readfirstlane_b32 s6, v2
	s_cmp_eq_u32 s6, 0
	s_cbranch_scc1 .LBB7_394
; %bb.393:                              ;   in Loop: Header=BB7_395 Depth=1
	s_sleep 1
	s_cbranch_execnz .LBB7_395
	s_branch .LBB7_441
.LBB7_394:
	s_branch .LBB7_441
.LBB7_395:                              ; =>This Inner Loop Header: Depth=1
	v_mov_b32_e32 v2, 1
	s_and_saveexec_b64 s[6:7], s[0:1]
	s_cbranch_execz .LBB7_392
; %bb.396:                              ;   in Loop: Header=BB7_395 Depth=1
	global_load_dword v2, v[4:5], off offset:20 sc0 sc1
	s_waitcnt vmcnt(0)
	buffer_inv sc0 sc1
	v_and_b32_e32 v2, 1, v2
	s_branch .LBB7_392
.LBB7_397:
	v_readlane_b32 s0, v79, 0
	v_readlane_b32 s1, v79, 1
	s_load_dwordx2 s[2:3], s[0:1], 0x50
	v_mbcnt_lo_u32_b32 v0, -1, 0
	v_mbcnt_hi_u32_b32 v32, -1, v0
	v_mov_b64_e32 v[4:5], 0
	v_readfirstlane_b32 s0, v32
	s_nop 1
	v_cmp_eq_u32_e64 s[0:1], s0, v32
	s_and_saveexec_b64 s[4:5], s[0:1]
	s_cbranch_execz .LBB7_403
; %bb.398:
	v_mov_b32_e32 v0, 0
	s_waitcnt lgkmcnt(0)
	global_load_dwordx2 v[6:7], v0, s[2:3] offset:24 sc0 sc1
	s_waitcnt vmcnt(0)
	buffer_inv sc0 sc1
	global_load_dwordx2 v[2:3], v0, s[2:3] offset:40
	global_load_dwordx2 v[4:5], v0, s[2:3]
	s_waitcnt vmcnt(1)
	v_and_b32_e32 v1, v2, v6
	v_and_b32_e32 v2, v3, v7
	v_mul_lo_u32 v2, v2, 24
	v_mul_hi_u32 v3, v1, 24
	v_add_u32_e32 v3, v3, v2
	v_mul_lo_u32 v2, v1, 24
	s_waitcnt vmcnt(0)
	v_lshl_add_u64 v[2:3], v[4:5], 0, v[2:3]
	global_load_dwordx2 v[4:5], v[2:3], off sc0 sc1
	s_waitcnt vmcnt(0)
	global_atomic_cmpswap_x2 v[4:5], v0, v[4:7], s[2:3] offset:24 sc0 sc1
	s_waitcnt vmcnt(0)
	buffer_inv sc0 sc1
	v_cmp_ne_u64_e32 vcc, v[4:5], v[6:7]
	s_and_saveexec_b64 s[6:7], vcc
	s_cbranch_execz .LBB7_402
; %bb.399:
	s_mov_b64 s[8:9], 0
.LBB7_400:                              ; =>This Inner Loop Header: Depth=1
	s_sleep 1
	global_load_dwordx2 v[2:3], v0, s[2:3] offset:40
	global_load_dwordx2 v[8:9], v0, s[2:3]
	v_mov_b64_e32 v[6:7], v[4:5]
	s_waitcnt vmcnt(1)
	v_and_b32_e32 v2, v2, v6
	v_and_b32_e32 v1, v3, v7
	s_waitcnt vmcnt(0)
	v_mad_u64_u32 v[2:3], s[10:11], v2, 24, v[8:9]
	v_mov_b32_e32 v4, v3
	v_mad_u64_u32 v[4:5], s[10:11], v1, 24, v[4:5]
	v_mov_b32_e32 v3, v4
	global_load_dwordx2 v[4:5], v[2:3], off sc0 sc1
	s_waitcnt vmcnt(0)
	global_atomic_cmpswap_x2 v[4:5], v0, v[4:7], s[2:3] offset:24 sc0 sc1
	s_waitcnt vmcnt(0)
	buffer_inv sc0 sc1
	v_cmp_eq_u64_e32 vcc, v[4:5], v[6:7]
	s_or_b64 s[8:9], vcc, s[8:9]
	s_andn2_b64 exec, exec, s[8:9]
	s_cbranch_execnz .LBB7_400
; %bb.401:
	s_or_b64 exec, exec, s[8:9]
.LBB7_402:
	s_or_b64 exec, exec, s[6:7]
.LBB7_403:
	s_or_b64 exec, exec, s[4:5]
	v_mov_b32_e32 v27, 0
	s_waitcnt lgkmcnt(0)
	global_load_dwordx2 v[6:7], v27, s[2:3] offset:40
	global_load_dwordx4 v[0:3], v27, s[2:3]
	v_readfirstlane_b32 s5, v5
	v_readfirstlane_b32 s4, v4
	s_mov_b64 s[6:7], exec
	s_waitcnt vmcnt(1)
	v_readfirstlane_b32 s8, v6
	v_readfirstlane_b32 s9, v7
	s_and_b64 s[8:9], s[8:9], s[4:5]
	s_mul_i32 s10, s9, 24
	s_mul_hi_u32 s11, s8, 24
	s_add_i32 s11, s11, s10
	s_mul_i32 s10, s8, 24
	s_waitcnt vmcnt(0)
	v_lshl_add_u64 v[4:5], v[0:1], 0, s[10:11]
	s_and_saveexec_b64 s[10:11], s[0:1]
	s_cbranch_execz .LBB7_405
; %bb.404:
	v_mov_b64_e32 v[6:7], s[6:7]
	v_mov_b32_e32 v8, 2
	v_mov_b32_e32 v9, 1
	global_store_dwordx4 v[4:5], v[6:9], off offset:8
.LBB7_405:
	s_or_b64 exec, exec, s[10:11]
	s_lshl_b64 s[6:7], s[8:9], 12
	v_lshl_add_u64 v[6:7], v[2:3], 0, s[6:7]
	s_mov_b32 s8, 0
	v_lshlrev_b32_e32 v26, 6, v32
	v_mov_b32_e32 v8, 33
	v_mov_b32_e32 v9, v27
	;; [unrolled: 1-line block ×4, first 2 shown]
	v_readfirstlane_b32 s6, v6
	v_readfirstlane_b32 s7, v7
	s_mov_b32 s9, s8
	s_mov_b32 s10, s8
	;; [unrolled: 1-line block ×3, first 2 shown]
	s_nop 1
	global_store_dwordx4 v26, v[8:11], s[6:7]
	s_nop 1
	v_mov_b64_e32 v[8:9], s[8:9]
	v_mov_b64_e32 v[10:11], s[10:11]
	global_store_dwordx4 v26, v[8:11], s[6:7] offset:16
	global_store_dwordx4 v26, v[8:11], s[6:7] offset:32
	;; [unrolled: 1-line block ×3, first 2 shown]
	s_and_saveexec_b64 s[6:7], s[0:1]
	s_cbranch_execz .LBB7_413
; %bb.406:
	v_mov_b32_e32 v10, 0
	global_load_dwordx2 v[14:15], v10, s[2:3] offset:32 sc0 sc1
	global_load_dwordx2 v[2:3], v10, s[2:3] offset:40
	v_mov_b32_e32 v12, s4
	v_mov_b32_e32 v13, s5
	s_waitcnt vmcnt(0)
	v_and_b32_e32 v2, s4, v2
	v_and_b32_e32 v3, s5, v3
	v_mul_lo_u32 v3, v3, 24
	v_mul_hi_u32 v8, v2, 24
	v_mul_lo_u32 v2, v2, 24
	v_add_u32_e32 v3, v8, v3
	v_lshl_add_u64 v[8:9], v[0:1], 0, v[2:3]
	global_store_dwordx2 v[8:9], v[14:15], off
	buffer_wbl2 sc0 sc1
	s_waitcnt vmcnt(0)
	global_atomic_cmpswap_x2 v[2:3], v10, v[12:15], s[2:3] offset:32 sc0 sc1
	s_waitcnt vmcnt(0)
	v_cmp_ne_u64_e32 vcc, v[2:3], v[14:15]
	s_and_saveexec_b64 s[8:9], vcc
	s_cbranch_execz .LBB7_409
; %bb.407:
	s_mov_b64 s[10:11], 0
.LBB7_408:                              ; =>This Inner Loop Header: Depth=1
	s_sleep 1
	global_store_dwordx2 v[8:9], v[2:3], off
	v_mov_b32_e32 v0, s4
	v_mov_b32_e32 v1, s5
	buffer_wbl2 sc0 sc1
	s_waitcnt vmcnt(0)
	global_atomic_cmpswap_x2 v[0:1], v10, v[0:3], s[2:3] offset:32 sc0 sc1
	s_waitcnt vmcnt(0)
	v_cmp_eq_u64_e32 vcc, v[0:1], v[2:3]
	s_or_b64 s[10:11], vcc, s[10:11]
	v_mov_b64_e32 v[2:3], v[0:1]
	s_andn2_b64 exec, exec, s[10:11]
	s_cbranch_execnz .LBB7_408
.LBB7_409:
	s_or_b64 exec, exec, s[8:9]
	v_mov_b32_e32 v3, 0
	global_load_dwordx2 v[0:1], v3, s[2:3] offset:16
	s_mov_b64 s[8:9], exec
	v_mbcnt_lo_u32_b32 v2, s8, 0
	v_mbcnt_hi_u32_b32 v2, s9, v2
	v_cmp_eq_u32_e32 vcc, 0, v2
	s_and_saveexec_b64 s[10:11], vcc
	s_cbranch_execz .LBB7_411
; %bb.410:
	s_bcnt1_i32_b64 s8, s[8:9]
	v_mov_b32_e32 v2, s8
	buffer_wbl2 sc0 sc1
	s_waitcnt vmcnt(0)
	global_atomic_add_x2 v[0:1], v[2:3], off offset:8 sc1
.LBB7_411:
	s_or_b64 exec, exec, s[10:11]
	s_waitcnt vmcnt(0)
	global_load_dwordx2 v[2:3], v[0:1], off offset:16
	s_waitcnt vmcnt(0)
	v_cmp_eq_u64_e32 vcc, 0, v[2:3]
	s_cbranch_vccnz .LBB7_413
; %bb.412:
	global_load_dword v0, v[0:1], off offset:24
	v_mov_b32_e32 v1, 0
	s_waitcnt vmcnt(0)
	v_readfirstlane_b32 s8, v0
	s_and_b32 m0, s8, 0xffffff
	buffer_wbl2 sc0 sc1
	global_store_dwordx2 v[2:3], v[0:1], off sc0 sc1
	s_sendmsg sendmsg(MSG_INTERRUPT)
.LBB7_413:
	s_or_b64 exec, exec, s[6:7]
	v_lshl_add_u64 v[0:1], v[6:7], 0, v[26:27]
	s_branch .LBB7_417
.LBB7_414:                              ;   in Loop: Header=BB7_417 Depth=1
	s_or_b64 exec, exec, s[6:7]
	v_readfirstlane_b32 s6, v2
	s_cmp_eq_u32 s6, 0
	s_cbranch_scc1 .LBB7_416
; %bb.415:                              ;   in Loop: Header=BB7_417 Depth=1
	s_sleep 1
	s_cbranch_execnz .LBB7_417
	s_branch .LBB7_529
.LBB7_416:
	s_branch .LBB7_529
.LBB7_417:                              ; =>This Inner Loop Header: Depth=1
	v_mov_b32_e32 v2, 1
	s_and_saveexec_b64 s[6:7], s[0:1]
	s_cbranch_execz .LBB7_414
; %bb.418:                              ;   in Loop: Header=BB7_417 Depth=1
	global_load_dword v2, v[4:5], off offset:20 sc0 sc1
	s_waitcnt vmcnt(0)
	buffer_inv sc0 sc1
	v_and_b32_e32 v2, 1, v2
	s_branch .LBB7_414
.LBB7_419:
	v_readlane_b32 s0, v79, 0
	v_readlane_b32 s1, v79, 1
	s_load_dwordx2 s[2:3], s[0:1], 0x50
	v_mbcnt_lo_u32_b32 v0, -1, 0
	v_mbcnt_hi_u32_b32 v32, -1, v0
	v_mov_b64_e32 v[4:5], 0
	v_readfirstlane_b32 s0, v32
	s_nop 1
	v_cmp_eq_u32_e64 s[0:1], s0, v32
	s_and_saveexec_b64 s[4:5], s[0:1]
	s_cbranch_execz .LBB7_425
; %bb.420:
	v_mov_b32_e32 v0, 0
	s_waitcnt lgkmcnt(0)
	global_load_dwordx2 v[6:7], v0, s[2:3] offset:24 sc0 sc1
	s_waitcnt vmcnt(0)
	buffer_inv sc0 sc1
	global_load_dwordx2 v[2:3], v0, s[2:3] offset:40
	global_load_dwordx2 v[4:5], v0, s[2:3]
	s_waitcnt vmcnt(1)
	v_and_b32_e32 v1, v2, v6
	v_and_b32_e32 v2, v3, v7
	v_mul_lo_u32 v2, v2, 24
	v_mul_hi_u32 v3, v1, 24
	v_add_u32_e32 v3, v3, v2
	v_mul_lo_u32 v2, v1, 24
	s_waitcnt vmcnt(0)
	v_lshl_add_u64 v[2:3], v[4:5], 0, v[2:3]
	global_load_dwordx2 v[4:5], v[2:3], off sc0 sc1
	s_waitcnt vmcnt(0)
	global_atomic_cmpswap_x2 v[4:5], v0, v[4:7], s[2:3] offset:24 sc0 sc1
	s_waitcnt vmcnt(0)
	buffer_inv sc0 sc1
	v_cmp_ne_u64_e32 vcc, v[4:5], v[6:7]
	s_and_saveexec_b64 s[6:7], vcc
	s_cbranch_execz .LBB7_424
; %bb.421:
	s_mov_b64 s[8:9], 0
.LBB7_422:                              ; =>This Inner Loop Header: Depth=1
	s_sleep 1
	global_load_dwordx2 v[2:3], v0, s[2:3] offset:40
	global_load_dwordx2 v[8:9], v0, s[2:3]
	v_mov_b64_e32 v[6:7], v[4:5]
	s_waitcnt vmcnt(1)
	v_and_b32_e32 v2, v2, v6
	v_and_b32_e32 v1, v3, v7
	s_waitcnt vmcnt(0)
	v_mad_u64_u32 v[2:3], s[10:11], v2, 24, v[8:9]
	v_mov_b32_e32 v4, v3
	v_mad_u64_u32 v[4:5], s[10:11], v1, 24, v[4:5]
	v_mov_b32_e32 v3, v4
	global_load_dwordx2 v[4:5], v[2:3], off sc0 sc1
	s_waitcnt vmcnt(0)
	global_atomic_cmpswap_x2 v[4:5], v0, v[4:7], s[2:3] offset:24 sc0 sc1
	s_waitcnt vmcnt(0)
	buffer_inv sc0 sc1
	v_cmp_eq_u64_e32 vcc, v[4:5], v[6:7]
	s_or_b64 s[8:9], vcc, s[8:9]
	s_andn2_b64 exec, exec, s[8:9]
	s_cbranch_execnz .LBB7_422
; %bb.423:
	s_or_b64 exec, exec, s[8:9]
.LBB7_424:
	s_or_b64 exec, exec, s[6:7]
.LBB7_425:
	s_or_b64 exec, exec, s[4:5]
	v_mov_b32_e32 v27, 0
	s_waitcnt lgkmcnt(0)
	global_load_dwordx2 v[6:7], v27, s[2:3] offset:40
	global_load_dwordx4 v[0:3], v27, s[2:3]
	v_readfirstlane_b32 s5, v5
	v_readfirstlane_b32 s4, v4
	s_mov_b64 s[6:7], exec
	s_waitcnt vmcnt(1)
	v_readfirstlane_b32 s8, v6
	v_readfirstlane_b32 s9, v7
	s_and_b64 s[8:9], s[8:9], s[4:5]
	s_mul_i32 s10, s9, 24
	s_mul_hi_u32 s11, s8, 24
	s_add_i32 s11, s11, s10
	s_mul_i32 s10, s8, 24
	s_waitcnt vmcnt(0)
	v_lshl_add_u64 v[4:5], v[0:1], 0, s[10:11]
	s_and_saveexec_b64 s[10:11], s[0:1]
	s_cbranch_execz .LBB7_427
; %bb.426:
	v_mov_b64_e32 v[6:7], s[6:7]
	v_mov_b32_e32 v8, 2
	v_mov_b32_e32 v9, 1
	global_store_dwordx4 v[4:5], v[6:9], off offset:8
.LBB7_427:
	s_or_b64 exec, exec, s[10:11]
	s_lshl_b64 s[6:7], s[8:9], 12
	v_lshl_add_u64 v[6:7], v[2:3], 0, s[6:7]
	s_mov_b32 s8, 0
	v_lshlrev_b32_e32 v26, 6, v32
	v_mov_b32_e32 v8, 33
	v_mov_b32_e32 v9, v27
	;; [unrolled: 1-line block ×4, first 2 shown]
	v_readfirstlane_b32 s6, v6
	v_readfirstlane_b32 s7, v7
	s_mov_b32 s9, s8
	s_mov_b32 s10, s8
	;; [unrolled: 1-line block ×3, first 2 shown]
	s_nop 1
	global_store_dwordx4 v26, v[8:11], s[6:7]
	s_nop 1
	v_mov_b64_e32 v[8:9], s[8:9]
	v_mov_b64_e32 v[10:11], s[10:11]
	global_store_dwordx4 v26, v[8:11], s[6:7] offset:16
	global_store_dwordx4 v26, v[8:11], s[6:7] offset:32
	global_store_dwordx4 v26, v[8:11], s[6:7] offset:48
	s_and_saveexec_b64 s[6:7], s[0:1]
	s_cbranch_execz .LBB7_435
; %bb.428:
	v_mov_b32_e32 v10, 0
	global_load_dwordx2 v[14:15], v10, s[2:3] offset:32 sc0 sc1
	global_load_dwordx2 v[2:3], v10, s[2:3] offset:40
	v_mov_b32_e32 v12, s4
	v_mov_b32_e32 v13, s5
	s_waitcnt vmcnt(0)
	v_and_b32_e32 v2, s4, v2
	v_and_b32_e32 v3, s5, v3
	v_mul_lo_u32 v3, v3, 24
	v_mul_hi_u32 v8, v2, 24
	v_mul_lo_u32 v2, v2, 24
	v_add_u32_e32 v3, v8, v3
	v_lshl_add_u64 v[8:9], v[0:1], 0, v[2:3]
	global_store_dwordx2 v[8:9], v[14:15], off
	buffer_wbl2 sc0 sc1
	s_waitcnt vmcnt(0)
	global_atomic_cmpswap_x2 v[2:3], v10, v[12:15], s[2:3] offset:32 sc0 sc1
	s_waitcnt vmcnt(0)
	v_cmp_ne_u64_e32 vcc, v[2:3], v[14:15]
	s_and_saveexec_b64 s[8:9], vcc
	s_cbranch_execz .LBB7_431
; %bb.429:
	s_mov_b64 s[10:11], 0
.LBB7_430:                              ; =>This Inner Loop Header: Depth=1
	s_sleep 1
	global_store_dwordx2 v[8:9], v[2:3], off
	v_mov_b32_e32 v0, s4
	v_mov_b32_e32 v1, s5
	buffer_wbl2 sc0 sc1
	s_waitcnt vmcnt(0)
	global_atomic_cmpswap_x2 v[0:1], v10, v[0:3], s[2:3] offset:32 sc0 sc1
	s_waitcnt vmcnt(0)
	v_cmp_eq_u64_e32 vcc, v[0:1], v[2:3]
	s_or_b64 s[10:11], vcc, s[10:11]
	v_mov_b64_e32 v[2:3], v[0:1]
	s_andn2_b64 exec, exec, s[10:11]
	s_cbranch_execnz .LBB7_430
.LBB7_431:
	s_or_b64 exec, exec, s[8:9]
	v_mov_b32_e32 v3, 0
	global_load_dwordx2 v[0:1], v3, s[2:3] offset:16
	s_mov_b64 s[8:9], exec
	v_mbcnt_lo_u32_b32 v2, s8, 0
	v_mbcnt_hi_u32_b32 v2, s9, v2
	v_cmp_eq_u32_e32 vcc, 0, v2
	s_and_saveexec_b64 s[10:11], vcc
	s_cbranch_execz .LBB7_433
; %bb.432:
	s_bcnt1_i32_b64 s8, s[8:9]
	v_mov_b32_e32 v2, s8
	buffer_wbl2 sc0 sc1
	s_waitcnt vmcnt(0)
	global_atomic_add_x2 v[0:1], v[2:3], off offset:8 sc1
.LBB7_433:
	s_or_b64 exec, exec, s[10:11]
	s_waitcnt vmcnt(0)
	global_load_dwordx2 v[2:3], v[0:1], off offset:16
	s_waitcnt vmcnt(0)
	v_cmp_eq_u64_e32 vcc, 0, v[2:3]
	s_cbranch_vccnz .LBB7_435
; %bb.434:
	global_load_dword v0, v[0:1], off offset:24
	v_mov_b32_e32 v1, 0
	s_waitcnt vmcnt(0)
	v_readfirstlane_b32 s8, v0
	s_and_b32 m0, s8, 0xffffff
	buffer_wbl2 sc0 sc1
	global_store_dwordx2 v[2:3], v[0:1], off sc0 sc1
	s_sendmsg sendmsg(MSG_INTERRUPT)
.LBB7_435:
	s_or_b64 exec, exec, s[6:7]
	v_lshl_add_u64 v[0:1], v[6:7], 0, v[26:27]
	s_branch .LBB7_439
.LBB7_436:                              ;   in Loop: Header=BB7_439 Depth=1
	s_or_b64 exec, exec, s[6:7]
	v_readfirstlane_b32 s6, v2
	s_cmp_eq_u32 s6, 0
	s_cbranch_scc1 .LBB7_438
; %bb.437:                              ;   in Loop: Header=BB7_439 Depth=1
	s_sleep 1
	s_cbranch_execnz .LBB7_439
	s_branch .LBB7_617
.LBB7_438:
	s_branch .LBB7_617
.LBB7_439:                              ; =>This Inner Loop Header: Depth=1
	v_mov_b32_e32 v2, 1
	s_and_saveexec_b64 s[6:7], s[0:1]
	s_cbranch_execz .LBB7_436
; %bb.440:                              ;   in Loop: Header=BB7_439 Depth=1
	global_load_dword v2, v[4:5], off offset:20 sc0 sc1
	s_waitcnt vmcnt(0)
	buffer_inv sc0 sc1
	v_and_b32_e32 v2, 1, v2
	s_branch .LBB7_436
.LBB7_441:
	global_load_dwordx2 v[0:1], v[0:1], off
	s_and_saveexec_b64 s[6:7], s[0:1]
	s_cbranch_execz .LBB7_444
; %bb.442:
	v_mov_b32_e32 v8, 0
	global_load_dwordx2 v[2:3], v8, s[2:3] offset:40
	global_load_dwordx2 v[12:13], v8, s[2:3] offset:24 sc0 sc1
	global_load_dwordx2 v[4:5], v8, s[2:3]
	s_waitcnt vmcnt(2)
	v_readfirstlane_b32 s8, v2
	v_readfirstlane_b32 s9, v3
	s_add_u32 s10, s8, 1
	s_addc_u32 s11, s9, 0
	s_add_u32 s0, s10, s4
	s_addc_u32 s1, s11, s5
	s_cmp_eq_u64 s[0:1], 0
	s_cselect_b32 s1, s11, s1
	s_cselect_b32 s0, s10, s0
	s_and_b64 s[4:5], s[0:1], s[8:9]
	s_mul_i32 s5, s5, 24
	s_mul_hi_u32 s8, s4, 24
	s_mul_i32 s4, s4, 24
	s_add_i32 s5, s8, s5
	s_waitcnt vmcnt(0)
	v_lshl_add_u64 v[6:7], v[4:5], 0, s[4:5]
	v_mov_b32_e32 v10, s0
	global_store_dwordx2 v[6:7], v[12:13], off
	v_mov_b32_e32 v11, s1
	buffer_wbl2 sc0 sc1
	s_waitcnt vmcnt(0)
	global_atomic_cmpswap_x2 v[4:5], v8, v[10:13], s[2:3] offset:24 sc0 sc1
	s_mov_b64 s[4:5], 0
	s_waitcnt vmcnt(0)
	v_cmp_ne_u64_e32 vcc, v[4:5], v[12:13]
	s_and_b64 exec, exec, vcc
	s_cbranch_execz .LBB7_444
.LBB7_443:                              ; =>This Inner Loop Header: Depth=1
	s_sleep 1
	global_store_dwordx2 v[6:7], v[4:5], off
	v_mov_b32_e32 v2, s0
	v_mov_b32_e32 v3, s1
	buffer_wbl2 sc0 sc1
	s_waitcnt vmcnt(0)
	global_atomic_cmpswap_x2 v[2:3], v8, v[2:5], s[2:3] offset:24 sc0 sc1
	s_waitcnt vmcnt(0)
	v_cmp_eq_u64_e32 vcc, v[2:3], v[4:5]
	s_or_b64 s[4:5], vcc, s[4:5]
	v_mov_b64_e32 v[4:5], v[2:3]
	s_andn2_b64 exec, exec, s[4:5]
	s_cbranch_execnz .LBB7_443
.LBB7_444:
	s_or_b64 exec, exec, s[6:7]
	s_getpc_b64 s[4:5]
	s_add_u32 s4, s4, .str.28@rel32@lo+4
	s_addc_u32 s5, s5, .str.28@rel32@hi+12
	s_cmp_lg_u64 s[4:5], 0
	s_cbranch_scc0 .LBB7_708
; %bb.445:
	s_waitcnt vmcnt(0)
	v_and_b32_e32 v6, -3, v0
	v_mov_b32_e32 v7, v1
	s_mov_b64 s[6:7], 35
	v_mov_b32_e32 v29, 0
	v_mov_b32_e32 v4, 2
	;; [unrolled: 1-line block ×3, first 2 shown]
	s_branch .LBB7_447
.LBB7_446:                              ;   in Loop: Header=BB7_447 Depth=1
	s_or_b64 exec, exec, s[12:13]
	s_sub_u32 s6, s6, s8
	s_subb_u32 s7, s7, s9
	s_add_u32 s4, s4, s8
	s_addc_u32 s5, s5, s9
	s_cmp_lg_u64 s[6:7], 0
	s_cbranch_scc0 .LBB7_705
.LBB7_447:                              ; =>This Loop Header: Depth=1
                                        ;     Child Loop BB7_450 Depth 2
                                        ;     Child Loop BB7_458 Depth 2
                                        ;     Child Loop BB7_466 Depth 2
                                        ;     Child Loop BB7_474 Depth 2
                                        ;     Child Loop BB7_482 Depth 2
                                        ;     Child Loop BB7_490 Depth 2
                                        ;     Child Loop BB7_498 Depth 2
                                        ;     Child Loop BB7_506 Depth 2
                                        ;     Child Loop BB7_514 Depth 2
                                        ;     Child Loop BB7_523 Depth 2
                                        ;     Child Loop BB7_528 Depth 2
	v_cmp_lt_u64_e64 s[0:1], s[6:7], 56
	s_and_b64 s[0:1], s[0:1], exec
	s_cselect_b32 s9, s7, 0
	s_cselect_b32 s8, s6, 56
	v_cmp_gt_u64_e64 s[10:11], s[6:7], 7
	s_add_u32 s0, s4, 8
	s_addc_u32 s1, s5, 0
	s_and_b64 vcc, exec, s[10:11]
	s_cbranch_vccnz .LBB7_451
; %bb.448:                              ;   in Loop: Header=BB7_447 Depth=1
	s_cmp_eq_u64 s[6:7], 0
	s_cbranch_scc1 .LBB7_452
; %bb.449:                              ;   in Loop: Header=BB7_447 Depth=1
	s_lshl_b64 s[0:1], s[8:9], 3
	s_mov_b64 s[10:11], 0
	s_waitcnt vmcnt(0)
	v_mov_b64_e32 v[8:9], 0
	s_mov_b64 s[12:13], s[4:5]
.LBB7_450:                              ;   Parent Loop BB7_447 Depth=1
                                        ; =>  This Inner Loop Header: Depth=2
	global_load_ubyte v2, v29, s[12:13]
	s_waitcnt vmcnt(0)
	v_and_b32_e32 v28, 0xffff, v2
	v_lshlrev_b64 v[2:3], s10, v[28:29]
	s_add_u32 s10, s10, 8
	s_addc_u32 s11, s11, 0
	s_add_u32 s12, s12, 1
	s_addc_u32 s13, s13, 0
	v_or_b32_e32 v8, v2, v8
	s_cmp_lg_u32 s0, s10
	v_or_b32_e32 v9, v3, v9
	s_cbranch_scc1 .LBB7_450
	s_branch .LBB7_453
.LBB7_451:                              ;   in Loop: Header=BB7_447 Depth=1
	s_mov_b32 s14, 0
	s_branch .LBB7_454
.LBB7_452:                              ;   in Loop: Header=BB7_447 Depth=1
	s_waitcnt vmcnt(0)
	v_mov_b64_e32 v[8:9], 0
.LBB7_453:                              ;   in Loop: Header=BB7_447 Depth=1
	s_mov_b64 s[0:1], s[4:5]
	s_mov_b32 s14, 0
	s_cbranch_execnz .LBB7_455
.LBB7_454:                              ;   in Loop: Header=BB7_447 Depth=1
	global_load_dwordx2 v[8:9], v29, s[4:5]
	s_add_i32 s14, s8, -8
.LBB7_455:                              ;   in Loop: Header=BB7_447 Depth=1
	s_add_u32 s10, s0, 8
	s_addc_u32 s11, s1, 0
	s_cmp_gt_u32 s14, 7
	s_cbranch_scc1 .LBB7_459
; %bb.456:                              ;   in Loop: Header=BB7_447 Depth=1
	s_cmp_eq_u32 s14, 0
	s_cbranch_scc1 .LBB7_460
; %bb.457:                              ;   in Loop: Header=BB7_447 Depth=1
	s_mov_b64 s[10:11], 0
	v_mov_b64_e32 v[10:11], 0
	s_mov_b64 s[12:13], 0
.LBB7_458:                              ;   Parent Loop BB7_447 Depth=1
                                        ; =>  This Inner Loop Header: Depth=2
	s_add_u32 s16, s0, s12
	s_addc_u32 s17, s1, s13
	global_load_ubyte v2, v29, s[16:17]
	s_add_u32 s12, s12, 1
	s_addc_u32 s13, s13, 0
	s_waitcnt vmcnt(0)
	v_and_b32_e32 v28, 0xffff, v2
	v_lshlrev_b64 v[2:3], s10, v[28:29]
	s_add_u32 s10, s10, 8
	s_addc_u32 s11, s11, 0
	v_or_b32_e32 v10, v2, v10
	s_cmp_lg_u32 s14, s12
	v_or_b32_e32 v11, v3, v11
	s_cbranch_scc1 .LBB7_458
	s_branch .LBB7_461
.LBB7_459:                              ;   in Loop: Header=BB7_447 Depth=1
                                        ; implicit-def: $vgpr10_vgpr11
	s_mov_b32 s15, 0
	s_branch .LBB7_462
.LBB7_460:                              ;   in Loop: Header=BB7_447 Depth=1
	v_mov_b64_e32 v[10:11], 0
.LBB7_461:                              ;   in Loop: Header=BB7_447 Depth=1
	s_mov_b64 s[10:11], s[0:1]
	s_mov_b32 s15, 0
	s_cbranch_execnz .LBB7_463
.LBB7_462:                              ;   in Loop: Header=BB7_447 Depth=1
	global_load_dwordx2 v[10:11], v29, s[0:1]
	s_add_i32 s15, s14, -8
.LBB7_463:                              ;   in Loop: Header=BB7_447 Depth=1
	s_add_u32 s0, s10, 8
	s_addc_u32 s1, s11, 0
	s_cmp_gt_u32 s15, 7
	s_cbranch_scc1 .LBB7_467
; %bb.464:                              ;   in Loop: Header=BB7_447 Depth=1
	s_cmp_eq_u32 s15, 0
	s_cbranch_scc1 .LBB7_468
; %bb.465:                              ;   in Loop: Header=BB7_447 Depth=1
	s_mov_b64 s[0:1], 0
	v_mov_b64_e32 v[12:13], 0
	s_mov_b64 s[12:13], 0
.LBB7_466:                              ;   Parent Loop BB7_447 Depth=1
                                        ; =>  This Inner Loop Header: Depth=2
	s_add_u32 s16, s10, s12
	s_addc_u32 s17, s11, s13
	global_load_ubyte v2, v29, s[16:17]
	s_add_u32 s12, s12, 1
	s_addc_u32 s13, s13, 0
	s_waitcnt vmcnt(0)
	v_and_b32_e32 v28, 0xffff, v2
	v_lshlrev_b64 v[2:3], s0, v[28:29]
	s_add_u32 s0, s0, 8
	s_addc_u32 s1, s1, 0
	v_or_b32_e32 v12, v2, v12
	s_cmp_lg_u32 s15, s12
	v_or_b32_e32 v13, v3, v13
	s_cbranch_scc1 .LBB7_466
	s_branch .LBB7_469
.LBB7_467:                              ;   in Loop: Header=BB7_447 Depth=1
	s_mov_b32 s14, 0
	s_branch .LBB7_470
.LBB7_468:                              ;   in Loop: Header=BB7_447 Depth=1
	v_mov_b64_e32 v[12:13], 0
.LBB7_469:                              ;   in Loop: Header=BB7_447 Depth=1
	s_mov_b64 s[0:1], s[10:11]
	s_mov_b32 s14, 0
	s_cbranch_execnz .LBB7_471
.LBB7_470:                              ;   in Loop: Header=BB7_447 Depth=1
	global_load_dwordx2 v[12:13], v29, s[10:11]
	s_add_i32 s14, s15, -8
.LBB7_471:                              ;   in Loop: Header=BB7_447 Depth=1
	s_add_u32 s10, s0, 8
	s_addc_u32 s11, s1, 0
	s_cmp_gt_u32 s14, 7
	s_cbranch_scc1 .LBB7_475
; %bb.472:                              ;   in Loop: Header=BB7_447 Depth=1
	s_cmp_eq_u32 s14, 0
	s_cbranch_scc1 .LBB7_476
; %bb.473:                              ;   in Loop: Header=BB7_447 Depth=1
	s_mov_b64 s[10:11], 0
	v_mov_b64_e32 v[14:15], 0
	s_mov_b64 s[12:13], 0
.LBB7_474:                              ;   Parent Loop BB7_447 Depth=1
                                        ; =>  This Inner Loop Header: Depth=2
	s_add_u32 s16, s0, s12
	s_addc_u32 s17, s1, s13
	global_load_ubyte v2, v29, s[16:17]
	s_add_u32 s12, s12, 1
	s_addc_u32 s13, s13, 0
	s_waitcnt vmcnt(0)
	v_and_b32_e32 v28, 0xffff, v2
	v_lshlrev_b64 v[2:3], s10, v[28:29]
	s_add_u32 s10, s10, 8
	s_addc_u32 s11, s11, 0
	v_or_b32_e32 v14, v2, v14
	s_cmp_lg_u32 s14, s12
	v_or_b32_e32 v15, v3, v15
	s_cbranch_scc1 .LBB7_474
	s_branch .LBB7_477
.LBB7_475:                              ;   in Loop: Header=BB7_447 Depth=1
                                        ; implicit-def: $vgpr14_vgpr15
	s_mov_b32 s15, 0
	s_branch .LBB7_478
.LBB7_476:                              ;   in Loop: Header=BB7_447 Depth=1
	v_mov_b64_e32 v[14:15], 0
.LBB7_477:                              ;   in Loop: Header=BB7_447 Depth=1
	s_mov_b64 s[10:11], s[0:1]
	s_mov_b32 s15, 0
	s_cbranch_execnz .LBB7_479
.LBB7_478:                              ;   in Loop: Header=BB7_447 Depth=1
	global_load_dwordx2 v[14:15], v29, s[0:1]
	s_add_i32 s15, s14, -8
.LBB7_479:                              ;   in Loop: Header=BB7_447 Depth=1
	s_add_u32 s0, s10, 8
	s_addc_u32 s1, s11, 0
	s_cmp_gt_u32 s15, 7
	s_cbranch_scc1 .LBB7_483
; %bb.480:                              ;   in Loop: Header=BB7_447 Depth=1
	s_cmp_eq_u32 s15, 0
	s_cbranch_scc1 .LBB7_484
; %bb.481:                              ;   in Loop: Header=BB7_447 Depth=1
	s_mov_b64 s[0:1], 0
	v_mov_b64_e32 v[16:17], 0
	s_mov_b64 s[12:13], 0
.LBB7_482:                              ;   Parent Loop BB7_447 Depth=1
                                        ; =>  This Inner Loop Header: Depth=2
	s_add_u32 s16, s10, s12
	s_addc_u32 s17, s11, s13
	global_load_ubyte v2, v29, s[16:17]
	s_add_u32 s12, s12, 1
	s_addc_u32 s13, s13, 0
	s_waitcnt vmcnt(0)
	v_and_b32_e32 v28, 0xffff, v2
	v_lshlrev_b64 v[2:3], s0, v[28:29]
	s_add_u32 s0, s0, 8
	s_addc_u32 s1, s1, 0
	v_or_b32_e32 v16, v2, v16
	s_cmp_lg_u32 s15, s12
	v_or_b32_e32 v17, v3, v17
	s_cbranch_scc1 .LBB7_482
	s_branch .LBB7_485
.LBB7_483:                              ;   in Loop: Header=BB7_447 Depth=1
	s_mov_b32 s14, 0
	s_branch .LBB7_486
.LBB7_484:                              ;   in Loop: Header=BB7_447 Depth=1
	v_mov_b64_e32 v[16:17], 0
.LBB7_485:                              ;   in Loop: Header=BB7_447 Depth=1
	s_mov_b64 s[0:1], s[10:11]
	s_mov_b32 s14, 0
	s_cbranch_execnz .LBB7_487
.LBB7_486:                              ;   in Loop: Header=BB7_447 Depth=1
	global_load_dwordx2 v[16:17], v29, s[10:11]
	s_add_i32 s14, s15, -8
.LBB7_487:                              ;   in Loop: Header=BB7_447 Depth=1
	s_add_u32 s10, s0, 8
	s_addc_u32 s11, s1, 0
	s_cmp_gt_u32 s14, 7
	s_cbranch_scc1 .LBB7_491
; %bb.488:                              ;   in Loop: Header=BB7_447 Depth=1
	s_cmp_eq_u32 s14, 0
	s_cbranch_scc1 .LBB7_492
; %bb.489:                              ;   in Loop: Header=BB7_447 Depth=1
	s_mov_b64 s[10:11], 0
	v_mov_b64_e32 v[18:19], 0
	s_mov_b64 s[12:13], 0
.LBB7_490:                              ;   Parent Loop BB7_447 Depth=1
                                        ; =>  This Inner Loop Header: Depth=2
	s_add_u32 s16, s0, s12
	s_addc_u32 s17, s1, s13
	global_load_ubyte v2, v29, s[16:17]
	s_add_u32 s12, s12, 1
	s_addc_u32 s13, s13, 0
	s_waitcnt vmcnt(0)
	v_and_b32_e32 v28, 0xffff, v2
	v_lshlrev_b64 v[2:3], s10, v[28:29]
	s_add_u32 s10, s10, 8
	s_addc_u32 s11, s11, 0
	v_or_b32_e32 v18, v2, v18
	s_cmp_lg_u32 s14, s12
	v_or_b32_e32 v19, v3, v19
	s_cbranch_scc1 .LBB7_490
	s_branch .LBB7_493
.LBB7_491:                              ;   in Loop: Header=BB7_447 Depth=1
                                        ; implicit-def: $vgpr18_vgpr19
	s_mov_b32 s15, 0
	s_branch .LBB7_494
.LBB7_492:                              ;   in Loop: Header=BB7_447 Depth=1
	v_mov_b64_e32 v[18:19], 0
.LBB7_493:                              ;   in Loop: Header=BB7_447 Depth=1
	s_mov_b64 s[10:11], s[0:1]
	s_mov_b32 s15, 0
	s_cbranch_execnz .LBB7_495
.LBB7_494:                              ;   in Loop: Header=BB7_447 Depth=1
	global_load_dwordx2 v[18:19], v29, s[0:1]
	s_add_i32 s15, s14, -8
.LBB7_495:                              ;   in Loop: Header=BB7_447 Depth=1
	s_cmp_gt_u32 s15, 7
	s_cbranch_scc1 .LBB7_499
; %bb.496:                              ;   in Loop: Header=BB7_447 Depth=1
	s_cmp_eq_u32 s15, 0
	s_cbranch_scc1 .LBB7_500
; %bb.497:                              ;   in Loop: Header=BB7_447 Depth=1
	s_mov_b64 s[0:1], 0
	v_mov_b64_e32 v[20:21], 0
	s_mov_b64 s[12:13], s[10:11]
.LBB7_498:                              ;   Parent Loop BB7_447 Depth=1
                                        ; =>  This Inner Loop Header: Depth=2
	global_load_ubyte v2, v29, s[12:13]
	s_add_i32 s15, s15, -1
	s_waitcnt vmcnt(0)
	v_and_b32_e32 v28, 0xffff, v2
	v_lshlrev_b64 v[2:3], s0, v[28:29]
	s_add_u32 s0, s0, 8
	s_addc_u32 s1, s1, 0
	s_add_u32 s12, s12, 1
	s_addc_u32 s13, s13, 0
	v_or_b32_e32 v20, v2, v20
	s_cmp_lg_u32 s15, 0
	v_or_b32_e32 v21, v3, v21
	s_cbranch_scc1 .LBB7_498
	s_branch .LBB7_501
.LBB7_499:                              ;   in Loop: Header=BB7_447 Depth=1
	s_branch .LBB7_502
.LBB7_500:                              ;   in Loop: Header=BB7_447 Depth=1
	v_mov_b64_e32 v[20:21], 0
.LBB7_501:                              ;   in Loop: Header=BB7_447 Depth=1
	s_cbranch_execnz .LBB7_503
.LBB7_502:                              ;   in Loop: Header=BB7_447 Depth=1
	global_load_dwordx2 v[20:21], v29, s[10:11]
.LBB7_503:                              ;   in Loop: Header=BB7_447 Depth=1
	v_readfirstlane_b32 s0, v32
	v_mov_b64_e32 v[2:3], 0
	s_nop 0
	v_cmp_eq_u32_e64 s[0:1], s0, v32
	s_and_saveexec_b64 s[10:11], s[0:1]
	s_cbranch_execz .LBB7_509
; %bb.504:                              ;   in Loop: Header=BB7_447 Depth=1
	global_load_dwordx2 v[24:25], v29, s[2:3] offset:24 sc0 sc1
	s_waitcnt vmcnt(0)
	buffer_inv sc0 sc1
	global_load_dwordx2 v[2:3], v29, s[2:3] offset:40
	global_load_dwordx2 v[22:23], v29, s[2:3]
	s_waitcnt vmcnt(1)
	v_and_b32_e32 v2, v2, v24
	v_and_b32_e32 v3, v3, v25
	v_mul_lo_u32 v3, v3, 24
	v_mul_hi_u32 v27, v2, 24
	v_add_u32_e32 v3, v27, v3
	v_mul_lo_u32 v2, v2, 24
	s_waitcnt vmcnt(0)
	v_lshl_add_u64 v[2:3], v[22:23], 0, v[2:3]
	global_load_dwordx2 v[22:23], v[2:3], off sc0 sc1
	s_waitcnt vmcnt(0)
	global_atomic_cmpswap_x2 v[2:3], v29, v[22:25], s[2:3] offset:24 sc0 sc1
	s_waitcnt vmcnt(0)
	buffer_inv sc0 sc1
	v_cmp_ne_u64_e32 vcc, v[2:3], v[24:25]
	s_and_saveexec_b64 s[12:13], vcc
	s_cbranch_execz .LBB7_508
; %bb.505:                              ;   in Loop: Header=BB7_447 Depth=1
	s_mov_b64 s[14:15], 0
.LBB7_506:                              ;   Parent Loop BB7_447 Depth=1
                                        ; =>  This Inner Loop Header: Depth=2
	s_sleep 1
	global_load_dwordx2 v[22:23], v29, s[2:3] offset:40
	global_load_dwordx2 v[30:31], v29, s[2:3]
	v_mov_b64_e32 v[24:25], v[2:3]
	s_waitcnt vmcnt(1)
	v_and_b32_e32 v2, v22, v24
	s_waitcnt vmcnt(0)
	v_mad_u64_u32 v[2:3], s[16:17], v2, 24, v[30:31]
	v_and_b32_e32 v23, v23, v25
	v_mov_b32_e32 v22, v3
	v_mad_u64_u32 v[22:23], s[16:17], v23, 24, v[22:23]
	v_mov_b32_e32 v3, v22
	global_load_dwordx2 v[22:23], v[2:3], off sc0 sc1
	s_waitcnt vmcnt(0)
	global_atomic_cmpswap_x2 v[2:3], v29, v[22:25], s[2:3] offset:24 sc0 sc1
	s_waitcnt vmcnt(0)
	buffer_inv sc0 sc1
	v_cmp_eq_u64_e32 vcc, v[2:3], v[24:25]
	s_or_b64 s[14:15], vcc, s[14:15]
	s_andn2_b64 exec, exec, s[14:15]
	s_cbranch_execnz .LBB7_506
; %bb.507:                              ;   in Loop: Header=BB7_447 Depth=1
	s_or_b64 exec, exec, s[14:15]
.LBB7_508:                              ;   in Loop: Header=BB7_447 Depth=1
	s_or_b64 exec, exec, s[12:13]
.LBB7_509:                              ;   in Loop: Header=BB7_447 Depth=1
	s_or_b64 exec, exec, s[10:11]
	global_load_dwordx2 v[30:31], v29, s[2:3] offset:40
	global_load_dwordx4 v[22:25], v29, s[2:3]
	v_readfirstlane_b32 s11, v3
	v_readfirstlane_b32 s10, v2
	s_mov_b64 s[12:13], exec
	s_waitcnt vmcnt(1)
	v_readfirstlane_b32 s14, v30
	v_readfirstlane_b32 s15, v31
	s_and_b64 s[14:15], s[14:15], s[10:11]
	s_mul_i32 s16, s15, 24
	s_mul_hi_u32 s17, s14, 24
	s_add_i32 s17, s17, s16
	s_mul_i32 s16, s14, 24
	s_waitcnt vmcnt(0)
	v_lshl_add_u64 v[30:31], v[22:23], 0, s[16:17]
	s_and_saveexec_b64 s[16:17], s[0:1]
	s_cbranch_execz .LBB7_511
; %bb.510:                              ;   in Loop: Header=BB7_447 Depth=1
	v_mov_b64_e32 v[2:3], s[12:13]
	global_store_dwordx4 v[30:31], v[2:5], off offset:8
.LBB7_511:                              ;   in Loop: Header=BB7_447 Depth=1
	s_or_b64 exec, exec, s[16:17]
	s_lshl_b64 s[12:13], s[14:15], 12
	v_lshl_add_u64 v[2:3], v[24:25], 0, s[12:13]
	v_cmp_gt_u64_e64 s[12:13], s[6:7], 56
	s_and_b64 s[12:13], s[12:13], exec
	s_cselect_b32 s12, 0, 2
	s_lshl_b32 s13, s8, 2
	s_add_i32 s13, s13, 28
	v_and_b32_e32 v6, 0xffffff1f, v6
	s_and_b32 s13, s13, 0x1e0
	v_or_b32_e32 v6, s12, v6
	v_or_b32_e32 v6, s13, v6
	v_readfirstlane_b32 s12, v2
	v_readfirstlane_b32 s13, v3
	s_nop 4
	global_store_dwordx4 v26, v[6:9], s[12:13]
	global_store_dwordx4 v26, v[10:13], s[12:13] offset:16
	global_store_dwordx4 v26, v[14:17], s[12:13] offset:32
	;; [unrolled: 1-line block ×3, first 2 shown]
	s_and_saveexec_b64 s[12:13], s[0:1]
	s_cbranch_execz .LBB7_519
; %bb.512:                              ;   in Loop: Header=BB7_447 Depth=1
	global_load_dwordx2 v[14:15], v29, s[2:3] offset:32 sc0 sc1
	global_load_dwordx2 v[6:7], v29, s[2:3] offset:40
	v_mov_b32_e32 v12, s10
	v_mov_b32_e32 v13, s11
	s_waitcnt vmcnt(0)
	v_readfirstlane_b32 s14, v6
	v_readfirstlane_b32 s15, v7
	s_and_b64 s[14:15], s[14:15], s[10:11]
	s_mul_i32 s15, s15, 24
	s_mul_hi_u32 s16, s14, 24
	s_mul_i32 s14, s14, 24
	s_add_i32 s15, s16, s15
	v_lshl_add_u64 v[10:11], v[22:23], 0, s[14:15]
	global_store_dwordx2 v[10:11], v[14:15], off
	buffer_wbl2 sc0 sc1
	s_waitcnt vmcnt(0)
	global_atomic_cmpswap_x2 v[8:9], v29, v[12:15], s[2:3] offset:32 sc0 sc1
	s_waitcnt vmcnt(0)
	v_cmp_ne_u64_e32 vcc, v[8:9], v[14:15]
	s_and_saveexec_b64 s[14:15], vcc
	s_cbranch_execz .LBB7_515
; %bb.513:                              ;   in Loop: Header=BB7_447 Depth=1
	s_mov_b64 s[16:17], 0
.LBB7_514:                              ;   Parent Loop BB7_447 Depth=1
                                        ; =>  This Inner Loop Header: Depth=2
	s_sleep 1
	global_store_dwordx2 v[10:11], v[8:9], off
	v_mov_b32_e32 v6, s10
	v_mov_b32_e32 v7, s11
	buffer_wbl2 sc0 sc1
	s_waitcnt vmcnt(0)
	global_atomic_cmpswap_x2 v[6:7], v29, v[6:9], s[2:3] offset:32 sc0 sc1
	s_waitcnt vmcnt(0)
	v_cmp_eq_u64_e32 vcc, v[6:7], v[8:9]
	s_or_b64 s[16:17], vcc, s[16:17]
	v_mov_b64_e32 v[8:9], v[6:7]
	s_andn2_b64 exec, exec, s[16:17]
	s_cbranch_execnz .LBB7_514
.LBB7_515:                              ;   in Loop: Header=BB7_447 Depth=1
	s_or_b64 exec, exec, s[14:15]
	global_load_dwordx2 v[6:7], v29, s[2:3] offset:16
	s_mov_b64 s[16:17], exec
	v_mbcnt_lo_u32_b32 v8, s16, 0
	v_mbcnt_hi_u32_b32 v8, s17, v8
	v_cmp_eq_u32_e32 vcc, 0, v8
	s_and_saveexec_b64 s[14:15], vcc
	s_cbranch_execz .LBB7_517
; %bb.516:                              ;   in Loop: Header=BB7_447 Depth=1
	s_bcnt1_i32_b64 s16, s[16:17]
	v_mov_b32_e32 v28, s16
	buffer_wbl2 sc0 sc1
	s_waitcnt vmcnt(0)
	global_atomic_add_x2 v[6:7], v[28:29], off offset:8 sc1
.LBB7_517:                              ;   in Loop: Header=BB7_447 Depth=1
	s_or_b64 exec, exec, s[14:15]
	s_waitcnt vmcnt(0)
	global_load_dwordx2 v[8:9], v[6:7], off offset:16
	s_waitcnt vmcnt(0)
	v_cmp_eq_u64_e32 vcc, 0, v[8:9]
	s_cbranch_vccnz .LBB7_519
; %bb.518:                              ;   in Loop: Header=BB7_447 Depth=1
	global_load_dword v28, v[6:7], off offset:24
	s_waitcnt vmcnt(0)
	v_readfirstlane_b32 s14, v28
	s_and_b32 m0, s14, 0xffffff
	buffer_wbl2 sc0 sc1
	global_store_dwordx2 v[8:9], v[28:29], off sc0 sc1
	s_sendmsg sendmsg(MSG_INTERRUPT)
.LBB7_519:                              ;   in Loop: Header=BB7_447 Depth=1
	s_or_b64 exec, exec, s[12:13]
	v_mov_b32_e32 v27, v29
	v_lshl_add_u64 v[2:3], v[2:3], 0, v[26:27]
	s_branch .LBB7_523
.LBB7_520:                              ;   in Loop: Header=BB7_523 Depth=2
	s_or_b64 exec, exec, s[12:13]
	v_readfirstlane_b32 s12, v6
	s_cmp_eq_u32 s12, 0
	s_cbranch_scc1 .LBB7_522
; %bb.521:                              ;   in Loop: Header=BB7_523 Depth=2
	s_sleep 1
	s_cbranch_execnz .LBB7_523
	s_branch .LBB7_525
.LBB7_522:                              ;   in Loop: Header=BB7_447 Depth=1
	s_branch .LBB7_525
.LBB7_523:                              ;   Parent Loop BB7_447 Depth=1
                                        ; =>  This Inner Loop Header: Depth=2
	v_mov_b32_e32 v6, 1
	s_and_saveexec_b64 s[12:13], s[0:1]
	s_cbranch_execz .LBB7_520
; %bb.524:                              ;   in Loop: Header=BB7_523 Depth=2
	global_load_dword v6, v[30:31], off offset:20 sc0 sc1
	s_waitcnt vmcnt(0)
	buffer_inv sc0 sc1
	v_and_b32_e32 v6, 1, v6
	s_branch .LBB7_520
.LBB7_525:                              ;   in Loop: Header=BB7_447 Depth=1
	global_load_dwordx4 v[6:9], v[2:3], off
	s_and_saveexec_b64 s[12:13], s[0:1]
	s_cbranch_execz .LBB7_446
; %bb.526:                              ;   in Loop: Header=BB7_447 Depth=1
	global_load_dwordx2 v[2:3], v29, s[2:3] offset:40
	global_load_dwordx2 v[12:13], v29, s[2:3] offset:24 sc0 sc1
	global_load_dwordx2 v[8:9], v29, s[2:3]
	s_waitcnt vmcnt(2)
	v_readfirstlane_b32 s14, v2
	v_readfirstlane_b32 s15, v3
	s_add_u32 s16, s14, 1
	s_addc_u32 s17, s15, 0
	s_add_u32 s0, s16, s10
	s_addc_u32 s1, s17, s11
	s_cmp_eq_u64 s[0:1], 0
	s_cselect_b32 s1, s17, s1
	s_cselect_b32 s0, s16, s0
	s_and_b64 s[10:11], s[0:1], s[14:15]
	s_mul_i32 s11, s11, 24
	s_mul_hi_u32 s14, s10, 24
	s_mul_i32 s10, s10, 24
	s_add_i32 s11, s14, s11
	s_waitcnt vmcnt(0)
	v_lshl_add_u64 v[2:3], v[8:9], 0, s[10:11]
	v_mov_b32_e32 v10, s0
	global_store_dwordx2 v[2:3], v[12:13], off
	v_mov_b32_e32 v11, s1
	buffer_wbl2 sc0 sc1
	s_waitcnt vmcnt(0)
	global_atomic_cmpswap_x2 v[10:11], v29, v[10:13], s[2:3] offset:24 sc0 sc1
	s_waitcnt vmcnt(0)
	v_cmp_ne_u64_e32 vcc, v[10:11], v[12:13]
	s_and_b64 exec, exec, vcc
	s_cbranch_execz .LBB7_446
; %bb.527:                              ;   in Loop: Header=BB7_447 Depth=1
	s_mov_b64 s[10:11], 0
.LBB7_528:                              ;   Parent Loop BB7_447 Depth=1
                                        ; =>  This Inner Loop Header: Depth=2
	s_sleep 1
	global_store_dwordx2 v[2:3], v[10:11], off
	v_mov_b32_e32 v8, s0
	v_mov_b32_e32 v9, s1
	buffer_wbl2 sc0 sc1
	s_waitcnt vmcnt(0)
	global_atomic_cmpswap_x2 v[8:9], v29, v[8:11], s[2:3] offset:24 sc0 sc1
	s_waitcnt vmcnt(0)
	v_cmp_eq_u64_e32 vcc, v[8:9], v[10:11]
	s_or_b64 s[10:11], vcc, s[10:11]
	v_mov_b64_e32 v[10:11], v[8:9]
	s_andn2_b64 exec, exec, s[10:11]
	s_cbranch_execnz .LBB7_528
	s_branch .LBB7_446
.LBB7_529:
	global_load_dwordx2 v[0:1], v[0:1], off
	s_and_saveexec_b64 s[6:7], s[0:1]
	s_cbranch_execz .LBB7_532
; %bb.530:
	v_mov_b32_e32 v8, 0
	global_load_dwordx2 v[2:3], v8, s[2:3] offset:40
	global_load_dwordx2 v[12:13], v8, s[2:3] offset:24 sc0 sc1
	global_load_dwordx2 v[4:5], v8, s[2:3]
	s_waitcnt vmcnt(2)
	v_readfirstlane_b32 s8, v2
	v_readfirstlane_b32 s9, v3
	s_add_u32 s10, s8, 1
	s_addc_u32 s11, s9, 0
	s_add_u32 s0, s10, s4
	s_addc_u32 s1, s11, s5
	s_cmp_eq_u64 s[0:1], 0
	s_cselect_b32 s1, s11, s1
	s_cselect_b32 s0, s10, s0
	s_and_b64 s[4:5], s[0:1], s[8:9]
	s_mul_i32 s5, s5, 24
	s_mul_hi_u32 s8, s4, 24
	s_mul_i32 s4, s4, 24
	s_add_i32 s5, s8, s5
	s_waitcnt vmcnt(0)
	v_lshl_add_u64 v[6:7], v[4:5], 0, s[4:5]
	v_mov_b32_e32 v10, s0
	global_store_dwordx2 v[6:7], v[12:13], off
	v_mov_b32_e32 v11, s1
	buffer_wbl2 sc0 sc1
	s_waitcnt vmcnt(0)
	global_atomic_cmpswap_x2 v[4:5], v8, v[10:13], s[2:3] offset:24 sc0 sc1
	s_mov_b64 s[4:5], 0
	s_waitcnt vmcnt(0)
	v_cmp_ne_u64_e32 vcc, v[4:5], v[12:13]
	s_and_b64 exec, exec, vcc
	s_cbranch_execz .LBB7_532
.LBB7_531:                              ; =>This Inner Loop Header: Depth=1
	s_sleep 1
	global_store_dwordx2 v[6:7], v[4:5], off
	v_mov_b32_e32 v2, s0
	v_mov_b32_e32 v3, s1
	buffer_wbl2 sc0 sc1
	s_waitcnt vmcnt(0)
	global_atomic_cmpswap_x2 v[2:3], v8, v[2:5], s[2:3] offset:24 sc0 sc1
	s_waitcnt vmcnt(0)
	v_cmp_eq_u64_e32 vcc, v[2:3], v[4:5]
	s_or_b64 s[4:5], vcc, s[4:5]
	v_mov_b64_e32 v[4:5], v[2:3]
	s_andn2_b64 exec, exec, s[4:5]
	s_cbranch_execnz .LBB7_531
.LBB7_532:
	s_or_b64 exec, exec, s[6:7]
	s_getpc_b64 s[4:5]
	s_add_u32 s4, s4, .str.28@rel32@lo+4
	s_addc_u32 s5, s5, .str.28@rel32@hi+12
	s_cmp_lg_u64 s[4:5], 0
	s_cbranch_scc0 .LBB7_738
; %bb.533:
	s_waitcnt vmcnt(0)
	v_and_b32_e32 v6, -3, v0
	v_mov_b32_e32 v7, v1
	s_mov_b64 s[6:7], 35
	v_mov_b32_e32 v29, 0
	v_mov_b32_e32 v4, 2
	v_mov_b32_e32 v5, 1
	s_branch .LBB7_535
.LBB7_534:                              ;   in Loop: Header=BB7_535 Depth=1
	s_or_b64 exec, exec, s[12:13]
	s_sub_u32 s6, s6, s8
	s_subb_u32 s7, s7, s9
	s_add_u32 s4, s4, s8
	s_addc_u32 s5, s5, s9
	s_cmp_lg_u64 s[6:7], 0
	s_cbranch_scc0 .LBB7_706
.LBB7_535:                              ; =>This Loop Header: Depth=1
                                        ;     Child Loop BB7_538 Depth 2
                                        ;     Child Loop BB7_546 Depth 2
	;; [unrolled: 1-line block ×11, first 2 shown]
	v_cmp_lt_u64_e64 s[0:1], s[6:7], 56
	s_and_b64 s[0:1], s[0:1], exec
	s_cselect_b32 s9, s7, 0
	s_cselect_b32 s8, s6, 56
	v_cmp_gt_u64_e64 s[10:11], s[6:7], 7
	s_add_u32 s0, s4, 8
	s_addc_u32 s1, s5, 0
	s_and_b64 vcc, exec, s[10:11]
	s_cbranch_vccnz .LBB7_539
; %bb.536:                              ;   in Loop: Header=BB7_535 Depth=1
	s_cmp_eq_u64 s[6:7], 0
	s_cbranch_scc1 .LBB7_540
; %bb.537:                              ;   in Loop: Header=BB7_535 Depth=1
	s_lshl_b64 s[0:1], s[8:9], 3
	s_mov_b64 s[10:11], 0
	s_waitcnt vmcnt(0)
	v_mov_b64_e32 v[8:9], 0
	s_mov_b64 s[12:13], s[4:5]
.LBB7_538:                              ;   Parent Loop BB7_535 Depth=1
                                        ; =>  This Inner Loop Header: Depth=2
	global_load_ubyte v2, v29, s[12:13]
	s_waitcnt vmcnt(0)
	v_and_b32_e32 v28, 0xffff, v2
	v_lshlrev_b64 v[2:3], s10, v[28:29]
	s_add_u32 s10, s10, 8
	s_addc_u32 s11, s11, 0
	s_add_u32 s12, s12, 1
	s_addc_u32 s13, s13, 0
	v_or_b32_e32 v8, v2, v8
	s_cmp_lg_u32 s0, s10
	v_or_b32_e32 v9, v3, v9
	s_cbranch_scc1 .LBB7_538
	s_branch .LBB7_541
.LBB7_539:                              ;   in Loop: Header=BB7_535 Depth=1
	s_mov_b32 s14, 0
	s_branch .LBB7_542
.LBB7_540:                              ;   in Loop: Header=BB7_535 Depth=1
	s_waitcnt vmcnt(0)
	v_mov_b64_e32 v[8:9], 0
.LBB7_541:                              ;   in Loop: Header=BB7_535 Depth=1
	s_mov_b64 s[0:1], s[4:5]
	s_mov_b32 s14, 0
	s_cbranch_execnz .LBB7_543
.LBB7_542:                              ;   in Loop: Header=BB7_535 Depth=1
	global_load_dwordx2 v[8:9], v29, s[4:5]
	s_add_i32 s14, s8, -8
.LBB7_543:                              ;   in Loop: Header=BB7_535 Depth=1
	s_add_u32 s10, s0, 8
	s_addc_u32 s11, s1, 0
	s_cmp_gt_u32 s14, 7
	s_cbranch_scc1 .LBB7_547
; %bb.544:                              ;   in Loop: Header=BB7_535 Depth=1
	s_cmp_eq_u32 s14, 0
	s_cbranch_scc1 .LBB7_548
; %bb.545:                              ;   in Loop: Header=BB7_535 Depth=1
	s_mov_b64 s[10:11], 0
	v_mov_b64_e32 v[10:11], 0
	s_mov_b64 s[12:13], 0
.LBB7_546:                              ;   Parent Loop BB7_535 Depth=1
                                        ; =>  This Inner Loop Header: Depth=2
	s_add_u32 s16, s0, s12
	s_addc_u32 s17, s1, s13
	global_load_ubyte v2, v29, s[16:17]
	s_add_u32 s12, s12, 1
	s_addc_u32 s13, s13, 0
	s_waitcnt vmcnt(0)
	v_and_b32_e32 v28, 0xffff, v2
	v_lshlrev_b64 v[2:3], s10, v[28:29]
	s_add_u32 s10, s10, 8
	s_addc_u32 s11, s11, 0
	v_or_b32_e32 v10, v2, v10
	s_cmp_lg_u32 s14, s12
	v_or_b32_e32 v11, v3, v11
	s_cbranch_scc1 .LBB7_546
	s_branch .LBB7_549
.LBB7_547:                              ;   in Loop: Header=BB7_535 Depth=1
                                        ; implicit-def: $vgpr10_vgpr11
	s_mov_b32 s15, 0
	s_branch .LBB7_550
.LBB7_548:                              ;   in Loop: Header=BB7_535 Depth=1
	v_mov_b64_e32 v[10:11], 0
.LBB7_549:                              ;   in Loop: Header=BB7_535 Depth=1
	s_mov_b64 s[10:11], s[0:1]
	s_mov_b32 s15, 0
	s_cbranch_execnz .LBB7_551
.LBB7_550:                              ;   in Loop: Header=BB7_535 Depth=1
	global_load_dwordx2 v[10:11], v29, s[0:1]
	s_add_i32 s15, s14, -8
.LBB7_551:                              ;   in Loop: Header=BB7_535 Depth=1
	s_add_u32 s0, s10, 8
	s_addc_u32 s1, s11, 0
	s_cmp_gt_u32 s15, 7
	s_cbranch_scc1 .LBB7_555
; %bb.552:                              ;   in Loop: Header=BB7_535 Depth=1
	s_cmp_eq_u32 s15, 0
	s_cbranch_scc1 .LBB7_556
; %bb.553:                              ;   in Loop: Header=BB7_535 Depth=1
	s_mov_b64 s[0:1], 0
	v_mov_b64_e32 v[12:13], 0
	s_mov_b64 s[12:13], 0
.LBB7_554:                              ;   Parent Loop BB7_535 Depth=1
                                        ; =>  This Inner Loop Header: Depth=2
	s_add_u32 s16, s10, s12
	s_addc_u32 s17, s11, s13
	global_load_ubyte v2, v29, s[16:17]
	s_add_u32 s12, s12, 1
	s_addc_u32 s13, s13, 0
	s_waitcnt vmcnt(0)
	v_and_b32_e32 v28, 0xffff, v2
	v_lshlrev_b64 v[2:3], s0, v[28:29]
	s_add_u32 s0, s0, 8
	s_addc_u32 s1, s1, 0
	v_or_b32_e32 v12, v2, v12
	s_cmp_lg_u32 s15, s12
	v_or_b32_e32 v13, v3, v13
	s_cbranch_scc1 .LBB7_554
	s_branch .LBB7_557
.LBB7_555:                              ;   in Loop: Header=BB7_535 Depth=1
	s_mov_b32 s14, 0
	s_branch .LBB7_558
.LBB7_556:                              ;   in Loop: Header=BB7_535 Depth=1
	v_mov_b64_e32 v[12:13], 0
.LBB7_557:                              ;   in Loop: Header=BB7_535 Depth=1
	s_mov_b64 s[0:1], s[10:11]
	s_mov_b32 s14, 0
	s_cbranch_execnz .LBB7_559
.LBB7_558:                              ;   in Loop: Header=BB7_535 Depth=1
	global_load_dwordx2 v[12:13], v29, s[10:11]
	s_add_i32 s14, s15, -8
.LBB7_559:                              ;   in Loop: Header=BB7_535 Depth=1
	s_add_u32 s10, s0, 8
	s_addc_u32 s11, s1, 0
	s_cmp_gt_u32 s14, 7
	s_cbranch_scc1 .LBB7_563
; %bb.560:                              ;   in Loop: Header=BB7_535 Depth=1
	s_cmp_eq_u32 s14, 0
	s_cbranch_scc1 .LBB7_564
; %bb.561:                              ;   in Loop: Header=BB7_535 Depth=1
	s_mov_b64 s[10:11], 0
	v_mov_b64_e32 v[14:15], 0
	s_mov_b64 s[12:13], 0
.LBB7_562:                              ;   Parent Loop BB7_535 Depth=1
                                        ; =>  This Inner Loop Header: Depth=2
	s_add_u32 s16, s0, s12
	s_addc_u32 s17, s1, s13
	global_load_ubyte v2, v29, s[16:17]
	s_add_u32 s12, s12, 1
	s_addc_u32 s13, s13, 0
	s_waitcnt vmcnt(0)
	v_and_b32_e32 v28, 0xffff, v2
	v_lshlrev_b64 v[2:3], s10, v[28:29]
	s_add_u32 s10, s10, 8
	s_addc_u32 s11, s11, 0
	v_or_b32_e32 v14, v2, v14
	s_cmp_lg_u32 s14, s12
	v_or_b32_e32 v15, v3, v15
	s_cbranch_scc1 .LBB7_562
	s_branch .LBB7_565
.LBB7_563:                              ;   in Loop: Header=BB7_535 Depth=1
                                        ; implicit-def: $vgpr14_vgpr15
	s_mov_b32 s15, 0
	s_branch .LBB7_566
.LBB7_564:                              ;   in Loop: Header=BB7_535 Depth=1
	v_mov_b64_e32 v[14:15], 0
.LBB7_565:                              ;   in Loop: Header=BB7_535 Depth=1
	s_mov_b64 s[10:11], s[0:1]
	s_mov_b32 s15, 0
	s_cbranch_execnz .LBB7_567
.LBB7_566:                              ;   in Loop: Header=BB7_535 Depth=1
	global_load_dwordx2 v[14:15], v29, s[0:1]
	s_add_i32 s15, s14, -8
.LBB7_567:                              ;   in Loop: Header=BB7_535 Depth=1
	s_add_u32 s0, s10, 8
	s_addc_u32 s1, s11, 0
	s_cmp_gt_u32 s15, 7
	s_cbranch_scc1 .LBB7_571
; %bb.568:                              ;   in Loop: Header=BB7_535 Depth=1
	s_cmp_eq_u32 s15, 0
	s_cbranch_scc1 .LBB7_572
; %bb.569:                              ;   in Loop: Header=BB7_535 Depth=1
	s_mov_b64 s[0:1], 0
	v_mov_b64_e32 v[16:17], 0
	s_mov_b64 s[12:13], 0
.LBB7_570:                              ;   Parent Loop BB7_535 Depth=1
                                        ; =>  This Inner Loop Header: Depth=2
	s_add_u32 s16, s10, s12
	s_addc_u32 s17, s11, s13
	global_load_ubyte v2, v29, s[16:17]
	s_add_u32 s12, s12, 1
	s_addc_u32 s13, s13, 0
	s_waitcnt vmcnt(0)
	v_and_b32_e32 v28, 0xffff, v2
	v_lshlrev_b64 v[2:3], s0, v[28:29]
	s_add_u32 s0, s0, 8
	s_addc_u32 s1, s1, 0
	v_or_b32_e32 v16, v2, v16
	s_cmp_lg_u32 s15, s12
	v_or_b32_e32 v17, v3, v17
	s_cbranch_scc1 .LBB7_570
	s_branch .LBB7_573
.LBB7_571:                              ;   in Loop: Header=BB7_535 Depth=1
	s_mov_b32 s14, 0
	s_branch .LBB7_574
.LBB7_572:                              ;   in Loop: Header=BB7_535 Depth=1
	v_mov_b64_e32 v[16:17], 0
.LBB7_573:                              ;   in Loop: Header=BB7_535 Depth=1
	s_mov_b64 s[0:1], s[10:11]
	s_mov_b32 s14, 0
	s_cbranch_execnz .LBB7_575
.LBB7_574:                              ;   in Loop: Header=BB7_535 Depth=1
	global_load_dwordx2 v[16:17], v29, s[10:11]
	s_add_i32 s14, s15, -8
.LBB7_575:                              ;   in Loop: Header=BB7_535 Depth=1
	s_add_u32 s10, s0, 8
	s_addc_u32 s11, s1, 0
	s_cmp_gt_u32 s14, 7
	s_cbranch_scc1 .LBB7_579
; %bb.576:                              ;   in Loop: Header=BB7_535 Depth=1
	s_cmp_eq_u32 s14, 0
	s_cbranch_scc1 .LBB7_580
; %bb.577:                              ;   in Loop: Header=BB7_535 Depth=1
	s_mov_b64 s[10:11], 0
	v_mov_b64_e32 v[18:19], 0
	s_mov_b64 s[12:13], 0
.LBB7_578:                              ;   Parent Loop BB7_535 Depth=1
                                        ; =>  This Inner Loop Header: Depth=2
	s_add_u32 s16, s0, s12
	s_addc_u32 s17, s1, s13
	global_load_ubyte v2, v29, s[16:17]
	s_add_u32 s12, s12, 1
	s_addc_u32 s13, s13, 0
	s_waitcnt vmcnt(0)
	v_and_b32_e32 v28, 0xffff, v2
	v_lshlrev_b64 v[2:3], s10, v[28:29]
	s_add_u32 s10, s10, 8
	s_addc_u32 s11, s11, 0
	v_or_b32_e32 v18, v2, v18
	s_cmp_lg_u32 s14, s12
	v_or_b32_e32 v19, v3, v19
	s_cbranch_scc1 .LBB7_578
	s_branch .LBB7_581
.LBB7_579:                              ;   in Loop: Header=BB7_535 Depth=1
                                        ; implicit-def: $vgpr18_vgpr19
	s_mov_b32 s15, 0
	s_branch .LBB7_582
.LBB7_580:                              ;   in Loop: Header=BB7_535 Depth=1
	v_mov_b64_e32 v[18:19], 0
.LBB7_581:                              ;   in Loop: Header=BB7_535 Depth=1
	s_mov_b64 s[10:11], s[0:1]
	s_mov_b32 s15, 0
	s_cbranch_execnz .LBB7_583
.LBB7_582:                              ;   in Loop: Header=BB7_535 Depth=1
	global_load_dwordx2 v[18:19], v29, s[0:1]
	s_add_i32 s15, s14, -8
.LBB7_583:                              ;   in Loop: Header=BB7_535 Depth=1
	s_cmp_gt_u32 s15, 7
	s_cbranch_scc1 .LBB7_587
; %bb.584:                              ;   in Loop: Header=BB7_535 Depth=1
	s_cmp_eq_u32 s15, 0
	s_cbranch_scc1 .LBB7_588
; %bb.585:                              ;   in Loop: Header=BB7_535 Depth=1
	s_mov_b64 s[0:1], 0
	v_mov_b64_e32 v[20:21], 0
	s_mov_b64 s[12:13], s[10:11]
.LBB7_586:                              ;   Parent Loop BB7_535 Depth=1
                                        ; =>  This Inner Loop Header: Depth=2
	global_load_ubyte v2, v29, s[12:13]
	s_add_i32 s15, s15, -1
	s_waitcnt vmcnt(0)
	v_and_b32_e32 v28, 0xffff, v2
	v_lshlrev_b64 v[2:3], s0, v[28:29]
	s_add_u32 s0, s0, 8
	s_addc_u32 s1, s1, 0
	s_add_u32 s12, s12, 1
	s_addc_u32 s13, s13, 0
	v_or_b32_e32 v20, v2, v20
	s_cmp_lg_u32 s15, 0
	v_or_b32_e32 v21, v3, v21
	s_cbranch_scc1 .LBB7_586
	s_branch .LBB7_589
.LBB7_587:                              ;   in Loop: Header=BB7_535 Depth=1
	s_branch .LBB7_590
.LBB7_588:                              ;   in Loop: Header=BB7_535 Depth=1
	v_mov_b64_e32 v[20:21], 0
.LBB7_589:                              ;   in Loop: Header=BB7_535 Depth=1
	s_cbranch_execnz .LBB7_591
.LBB7_590:                              ;   in Loop: Header=BB7_535 Depth=1
	global_load_dwordx2 v[20:21], v29, s[10:11]
.LBB7_591:                              ;   in Loop: Header=BB7_535 Depth=1
	v_readfirstlane_b32 s0, v32
	v_mov_b64_e32 v[2:3], 0
	s_nop 0
	v_cmp_eq_u32_e64 s[0:1], s0, v32
	s_and_saveexec_b64 s[10:11], s[0:1]
	s_cbranch_execz .LBB7_597
; %bb.592:                              ;   in Loop: Header=BB7_535 Depth=1
	global_load_dwordx2 v[24:25], v29, s[2:3] offset:24 sc0 sc1
	s_waitcnt vmcnt(0)
	buffer_inv sc0 sc1
	global_load_dwordx2 v[2:3], v29, s[2:3] offset:40
	global_load_dwordx2 v[22:23], v29, s[2:3]
	s_waitcnt vmcnt(1)
	v_and_b32_e32 v2, v2, v24
	v_and_b32_e32 v3, v3, v25
	v_mul_lo_u32 v3, v3, 24
	v_mul_hi_u32 v27, v2, 24
	v_add_u32_e32 v3, v27, v3
	v_mul_lo_u32 v2, v2, 24
	s_waitcnt vmcnt(0)
	v_lshl_add_u64 v[2:3], v[22:23], 0, v[2:3]
	global_load_dwordx2 v[22:23], v[2:3], off sc0 sc1
	s_waitcnt vmcnt(0)
	global_atomic_cmpswap_x2 v[2:3], v29, v[22:25], s[2:3] offset:24 sc0 sc1
	s_waitcnt vmcnt(0)
	buffer_inv sc0 sc1
	v_cmp_ne_u64_e32 vcc, v[2:3], v[24:25]
	s_and_saveexec_b64 s[12:13], vcc
	s_cbranch_execz .LBB7_596
; %bb.593:                              ;   in Loop: Header=BB7_535 Depth=1
	s_mov_b64 s[14:15], 0
.LBB7_594:                              ;   Parent Loop BB7_535 Depth=1
                                        ; =>  This Inner Loop Header: Depth=2
	s_sleep 1
	global_load_dwordx2 v[22:23], v29, s[2:3] offset:40
	global_load_dwordx2 v[30:31], v29, s[2:3]
	v_mov_b64_e32 v[24:25], v[2:3]
	s_waitcnt vmcnt(1)
	v_and_b32_e32 v2, v22, v24
	s_waitcnt vmcnt(0)
	v_mad_u64_u32 v[2:3], s[16:17], v2, 24, v[30:31]
	v_and_b32_e32 v23, v23, v25
	v_mov_b32_e32 v22, v3
	v_mad_u64_u32 v[22:23], s[16:17], v23, 24, v[22:23]
	v_mov_b32_e32 v3, v22
	global_load_dwordx2 v[22:23], v[2:3], off sc0 sc1
	s_waitcnt vmcnt(0)
	global_atomic_cmpswap_x2 v[2:3], v29, v[22:25], s[2:3] offset:24 sc0 sc1
	s_waitcnt vmcnt(0)
	buffer_inv sc0 sc1
	v_cmp_eq_u64_e32 vcc, v[2:3], v[24:25]
	s_or_b64 s[14:15], vcc, s[14:15]
	s_andn2_b64 exec, exec, s[14:15]
	s_cbranch_execnz .LBB7_594
; %bb.595:                              ;   in Loop: Header=BB7_535 Depth=1
	s_or_b64 exec, exec, s[14:15]
.LBB7_596:                              ;   in Loop: Header=BB7_535 Depth=1
	s_or_b64 exec, exec, s[12:13]
.LBB7_597:                              ;   in Loop: Header=BB7_535 Depth=1
	s_or_b64 exec, exec, s[10:11]
	global_load_dwordx2 v[30:31], v29, s[2:3] offset:40
	global_load_dwordx4 v[22:25], v29, s[2:3]
	v_readfirstlane_b32 s11, v3
	v_readfirstlane_b32 s10, v2
	s_mov_b64 s[12:13], exec
	s_waitcnt vmcnt(1)
	v_readfirstlane_b32 s14, v30
	v_readfirstlane_b32 s15, v31
	s_and_b64 s[14:15], s[14:15], s[10:11]
	s_mul_i32 s16, s15, 24
	s_mul_hi_u32 s17, s14, 24
	s_add_i32 s17, s17, s16
	s_mul_i32 s16, s14, 24
	s_waitcnt vmcnt(0)
	v_lshl_add_u64 v[30:31], v[22:23], 0, s[16:17]
	s_and_saveexec_b64 s[16:17], s[0:1]
	s_cbranch_execz .LBB7_599
; %bb.598:                              ;   in Loop: Header=BB7_535 Depth=1
	v_mov_b64_e32 v[2:3], s[12:13]
	global_store_dwordx4 v[30:31], v[2:5], off offset:8
.LBB7_599:                              ;   in Loop: Header=BB7_535 Depth=1
	s_or_b64 exec, exec, s[16:17]
	s_lshl_b64 s[12:13], s[14:15], 12
	v_lshl_add_u64 v[2:3], v[24:25], 0, s[12:13]
	v_cmp_gt_u64_e64 s[12:13], s[6:7], 56
	s_and_b64 s[12:13], s[12:13], exec
	s_cselect_b32 s12, 0, 2
	s_lshl_b32 s13, s8, 2
	s_add_i32 s13, s13, 28
	v_and_b32_e32 v6, 0xffffff1f, v6
	s_and_b32 s13, s13, 0x1e0
	v_or_b32_e32 v6, s12, v6
	v_or_b32_e32 v6, s13, v6
	v_readfirstlane_b32 s12, v2
	v_readfirstlane_b32 s13, v3
	s_nop 4
	global_store_dwordx4 v26, v[6:9], s[12:13]
	global_store_dwordx4 v26, v[10:13], s[12:13] offset:16
	global_store_dwordx4 v26, v[14:17], s[12:13] offset:32
	;; [unrolled: 1-line block ×3, first 2 shown]
	s_and_saveexec_b64 s[12:13], s[0:1]
	s_cbranch_execz .LBB7_607
; %bb.600:                              ;   in Loop: Header=BB7_535 Depth=1
	global_load_dwordx2 v[14:15], v29, s[2:3] offset:32 sc0 sc1
	global_load_dwordx2 v[6:7], v29, s[2:3] offset:40
	v_mov_b32_e32 v12, s10
	v_mov_b32_e32 v13, s11
	s_waitcnt vmcnt(0)
	v_readfirstlane_b32 s14, v6
	v_readfirstlane_b32 s15, v7
	s_and_b64 s[14:15], s[14:15], s[10:11]
	s_mul_i32 s15, s15, 24
	s_mul_hi_u32 s16, s14, 24
	s_mul_i32 s14, s14, 24
	s_add_i32 s15, s16, s15
	v_lshl_add_u64 v[10:11], v[22:23], 0, s[14:15]
	global_store_dwordx2 v[10:11], v[14:15], off
	buffer_wbl2 sc0 sc1
	s_waitcnt vmcnt(0)
	global_atomic_cmpswap_x2 v[8:9], v29, v[12:15], s[2:3] offset:32 sc0 sc1
	s_waitcnt vmcnt(0)
	v_cmp_ne_u64_e32 vcc, v[8:9], v[14:15]
	s_and_saveexec_b64 s[14:15], vcc
	s_cbranch_execz .LBB7_603
; %bb.601:                              ;   in Loop: Header=BB7_535 Depth=1
	s_mov_b64 s[16:17], 0
.LBB7_602:                              ;   Parent Loop BB7_535 Depth=1
                                        ; =>  This Inner Loop Header: Depth=2
	s_sleep 1
	global_store_dwordx2 v[10:11], v[8:9], off
	v_mov_b32_e32 v6, s10
	v_mov_b32_e32 v7, s11
	buffer_wbl2 sc0 sc1
	s_waitcnt vmcnt(0)
	global_atomic_cmpswap_x2 v[6:7], v29, v[6:9], s[2:3] offset:32 sc0 sc1
	s_waitcnt vmcnt(0)
	v_cmp_eq_u64_e32 vcc, v[6:7], v[8:9]
	s_or_b64 s[16:17], vcc, s[16:17]
	v_mov_b64_e32 v[8:9], v[6:7]
	s_andn2_b64 exec, exec, s[16:17]
	s_cbranch_execnz .LBB7_602
.LBB7_603:                              ;   in Loop: Header=BB7_535 Depth=1
	s_or_b64 exec, exec, s[14:15]
	global_load_dwordx2 v[6:7], v29, s[2:3] offset:16
	s_mov_b64 s[16:17], exec
	v_mbcnt_lo_u32_b32 v8, s16, 0
	v_mbcnt_hi_u32_b32 v8, s17, v8
	v_cmp_eq_u32_e32 vcc, 0, v8
	s_and_saveexec_b64 s[14:15], vcc
	s_cbranch_execz .LBB7_605
; %bb.604:                              ;   in Loop: Header=BB7_535 Depth=1
	s_bcnt1_i32_b64 s16, s[16:17]
	v_mov_b32_e32 v28, s16
	buffer_wbl2 sc0 sc1
	s_waitcnt vmcnt(0)
	global_atomic_add_x2 v[6:7], v[28:29], off offset:8 sc1
.LBB7_605:                              ;   in Loop: Header=BB7_535 Depth=1
	s_or_b64 exec, exec, s[14:15]
	s_waitcnt vmcnt(0)
	global_load_dwordx2 v[8:9], v[6:7], off offset:16
	s_waitcnt vmcnt(0)
	v_cmp_eq_u64_e32 vcc, 0, v[8:9]
	s_cbranch_vccnz .LBB7_607
; %bb.606:                              ;   in Loop: Header=BB7_535 Depth=1
	global_load_dword v28, v[6:7], off offset:24
	s_waitcnt vmcnt(0)
	v_readfirstlane_b32 s14, v28
	s_and_b32 m0, s14, 0xffffff
	buffer_wbl2 sc0 sc1
	global_store_dwordx2 v[8:9], v[28:29], off sc0 sc1
	s_sendmsg sendmsg(MSG_INTERRUPT)
.LBB7_607:                              ;   in Loop: Header=BB7_535 Depth=1
	s_or_b64 exec, exec, s[12:13]
	v_mov_b32_e32 v27, v29
	v_lshl_add_u64 v[2:3], v[2:3], 0, v[26:27]
	s_branch .LBB7_611
.LBB7_608:                              ;   in Loop: Header=BB7_611 Depth=2
	s_or_b64 exec, exec, s[12:13]
	v_readfirstlane_b32 s12, v6
	s_cmp_eq_u32 s12, 0
	s_cbranch_scc1 .LBB7_610
; %bb.609:                              ;   in Loop: Header=BB7_611 Depth=2
	s_sleep 1
	s_cbranch_execnz .LBB7_611
	s_branch .LBB7_613
.LBB7_610:                              ;   in Loop: Header=BB7_535 Depth=1
	s_branch .LBB7_613
.LBB7_611:                              ;   Parent Loop BB7_535 Depth=1
                                        ; =>  This Inner Loop Header: Depth=2
	v_mov_b32_e32 v6, 1
	s_and_saveexec_b64 s[12:13], s[0:1]
	s_cbranch_execz .LBB7_608
; %bb.612:                              ;   in Loop: Header=BB7_611 Depth=2
	global_load_dword v6, v[30:31], off offset:20 sc0 sc1
	s_waitcnt vmcnt(0)
	buffer_inv sc0 sc1
	v_and_b32_e32 v6, 1, v6
	s_branch .LBB7_608
.LBB7_613:                              ;   in Loop: Header=BB7_535 Depth=1
	global_load_dwordx4 v[6:9], v[2:3], off
	s_and_saveexec_b64 s[12:13], s[0:1]
	s_cbranch_execz .LBB7_534
; %bb.614:                              ;   in Loop: Header=BB7_535 Depth=1
	global_load_dwordx2 v[2:3], v29, s[2:3] offset:40
	global_load_dwordx2 v[12:13], v29, s[2:3] offset:24 sc0 sc1
	global_load_dwordx2 v[8:9], v29, s[2:3]
	s_waitcnt vmcnt(2)
	v_readfirstlane_b32 s14, v2
	v_readfirstlane_b32 s15, v3
	s_add_u32 s16, s14, 1
	s_addc_u32 s17, s15, 0
	s_add_u32 s0, s16, s10
	s_addc_u32 s1, s17, s11
	s_cmp_eq_u64 s[0:1], 0
	s_cselect_b32 s1, s17, s1
	s_cselect_b32 s0, s16, s0
	s_and_b64 s[10:11], s[0:1], s[14:15]
	s_mul_i32 s11, s11, 24
	s_mul_hi_u32 s14, s10, 24
	s_mul_i32 s10, s10, 24
	s_add_i32 s11, s14, s11
	s_waitcnt vmcnt(0)
	v_lshl_add_u64 v[2:3], v[8:9], 0, s[10:11]
	v_mov_b32_e32 v10, s0
	global_store_dwordx2 v[2:3], v[12:13], off
	v_mov_b32_e32 v11, s1
	buffer_wbl2 sc0 sc1
	s_waitcnt vmcnt(0)
	global_atomic_cmpswap_x2 v[10:11], v29, v[10:13], s[2:3] offset:24 sc0 sc1
	s_waitcnt vmcnt(0)
	v_cmp_ne_u64_e32 vcc, v[10:11], v[12:13]
	s_and_b64 exec, exec, vcc
	s_cbranch_execz .LBB7_534
; %bb.615:                              ;   in Loop: Header=BB7_535 Depth=1
	s_mov_b64 s[10:11], 0
.LBB7_616:                              ;   Parent Loop BB7_535 Depth=1
                                        ; =>  This Inner Loop Header: Depth=2
	s_sleep 1
	global_store_dwordx2 v[2:3], v[10:11], off
	v_mov_b32_e32 v8, s0
	v_mov_b32_e32 v9, s1
	buffer_wbl2 sc0 sc1
	s_waitcnt vmcnt(0)
	global_atomic_cmpswap_x2 v[8:9], v29, v[8:11], s[2:3] offset:24 sc0 sc1
	s_waitcnt vmcnt(0)
	v_cmp_eq_u64_e32 vcc, v[8:9], v[10:11]
	s_or_b64 s[10:11], vcc, s[10:11]
	v_mov_b64_e32 v[10:11], v[8:9]
	s_andn2_b64 exec, exec, s[10:11]
	s_cbranch_execnz .LBB7_616
	s_branch .LBB7_534
.LBB7_617:
	global_load_dwordx2 v[0:1], v[0:1], off
	s_and_saveexec_b64 s[6:7], s[0:1]
	s_cbranch_execz .LBB7_620
; %bb.618:
	v_mov_b32_e32 v8, 0
	global_load_dwordx2 v[2:3], v8, s[2:3] offset:40
	global_load_dwordx2 v[12:13], v8, s[2:3] offset:24 sc0 sc1
	global_load_dwordx2 v[4:5], v8, s[2:3]
	s_waitcnt vmcnt(2)
	v_readfirstlane_b32 s8, v2
	v_readfirstlane_b32 s9, v3
	s_add_u32 s10, s8, 1
	s_addc_u32 s11, s9, 0
	s_add_u32 s0, s10, s4
	s_addc_u32 s1, s11, s5
	s_cmp_eq_u64 s[0:1], 0
	s_cselect_b32 s1, s11, s1
	s_cselect_b32 s0, s10, s0
	s_and_b64 s[4:5], s[0:1], s[8:9]
	s_mul_i32 s5, s5, 24
	s_mul_hi_u32 s8, s4, 24
	s_mul_i32 s4, s4, 24
	s_add_i32 s5, s8, s5
	s_waitcnt vmcnt(0)
	v_lshl_add_u64 v[6:7], v[4:5], 0, s[4:5]
	v_mov_b32_e32 v10, s0
	global_store_dwordx2 v[6:7], v[12:13], off
	v_mov_b32_e32 v11, s1
	buffer_wbl2 sc0 sc1
	s_waitcnt vmcnt(0)
	global_atomic_cmpswap_x2 v[4:5], v8, v[10:13], s[2:3] offset:24 sc0 sc1
	s_mov_b64 s[4:5], 0
	s_waitcnt vmcnt(0)
	v_cmp_ne_u64_e32 vcc, v[4:5], v[12:13]
	s_and_b64 exec, exec, vcc
	s_cbranch_execz .LBB7_620
.LBB7_619:                              ; =>This Inner Loop Header: Depth=1
	s_sleep 1
	global_store_dwordx2 v[6:7], v[4:5], off
	v_mov_b32_e32 v2, s0
	v_mov_b32_e32 v3, s1
	buffer_wbl2 sc0 sc1
	s_waitcnt vmcnt(0)
	global_atomic_cmpswap_x2 v[2:3], v8, v[2:5], s[2:3] offset:24 sc0 sc1
	s_waitcnt vmcnt(0)
	v_cmp_eq_u64_e32 vcc, v[2:3], v[4:5]
	s_or_b64 s[4:5], vcc, s[4:5]
	v_mov_b64_e32 v[4:5], v[2:3]
	s_andn2_b64 exec, exec, s[4:5]
	s_cbranch_execnz .LBB7_619
.LBB7_620:
	s_or_b64 exec, exec, s[6:7]
	s_getpc_b64 s[4:5]
	s_add_u32 s4, s4, .str.28@rel32@lo+4
	s_addc_u32 s5, s5, .str.28@rel32@hi+12
	s_cmp_lg_u64 s[4:5], 0
	s_cbranch_scc0 .LBB7_767
; %bb.621:
	s_waitcnt vmcnt(0)
	v_and_b32_e32 v6, -3, v0
	v_mov_b32_e32 v7, v1
	s_mov_b64 s[6:7], 35
	v_mov_b32_e32 v29, 0
	v_mov_b32_e32 v4, 2
	;; [unrolled: 1-line block ×3, first 2 shown]
	s_branch .LBB7_623
.LBB7_622:                              ;   in Loop: Header=BB7_623 Depth=1
	s_or_b64 exec, exec, s[12:13]
	s_sub_u32 s6, s6, s8
	s_subb_u32 s7, s7, s9
	s_add_u32 s4, s4, s8
	s_addc_u32 s5, s5, s9
	s_cmp_lg_u64 s[6:7], 0
	s_cbranch_scc0 .LBB7_707
.LBB7_623:                              ; =>This Loop Header: Depth=1
                                        ;     Child Loop BB7_626 Depth 2
                                        ;     Child Loop BB7_634 Depth 2
	;; [unrolled: 1-line block ×11, first 2 shown]
	v_cmp_lt_u64_e64 s[0:1], s[6:7], 56
	s_and_b64 s[0:1], s[0:1], exec
	s_cselect_b32 s9, s7, 0
	s_cselect_b32 s8, s6, 56
	v_cmp_gt_u64_e64 s[10:11], s[6:7], 7
	s_add_u32 s0, s4, 8
	s_addc_u32 s1, s5, 0
	s_and_b64 vcc, exec, s[10:11]
	s_cbranch_vccnz .LBB7_627
; %bb.624:                              ;   in Loop: Header=BB7_623 Depth=1
	s_cmp_eq_u64 s[6:7], 0
	s_cbranch_scc1 .LBB7_628
; %bb.625:                              ;   in Loop: Header=BB7_623 Depth=1
	s_lshl_b64 s[0:1], s[8:9], 3
	s_mov_b64 s[10:11], 0
	s_waitcnt vmcnt(0)
	v_mov_b64_e32 v[8:9], 0
	s_mov_b64 s[12:13], s[4:5]
.LBB7_626:                              ;   Parent Loop BB7_623 Depth=1
                                        ; =>  This Inner Loop Header: Depth=2
	global_load_ubyte v2, v29, s[12:13]
	s_waitcnt vmcnt(0)
	v_and_b32_e32 v28, 0xffff, v2
	v_lshlrev_b64 v[2:3], s10, v[28:29]
	s_add_u32 s10, s10, 8
	s_addc_u32 s11, s11, 0
	s_add_u32 s12, s12, 1
	s_addc_u32 s13, s13, 0
	v_or_b32_e32 v8, v2, v8
	s_cmp_lg_u32 s0, s10
	v_or_b32_e32 v9, v3, v9
	s_cbranch_scc1 .LBB7_626
	s_branch .LBB7_629
.LBB7_627:                              ;   in Loop: Header=BB7_623 Depth=1
	s_mov_b32 s14, 0
	s_branch .LBB7_630
.LBB7_628:                              ;   in Loop: Header=BB7_623 Depth=1
	s_waitcnt vmcnt(0)
	v_mov_b64_e32 v[8:9], 0
.LBB7_629:                              ;   in Loop: Header=BB7_623 Depth=1
	s_mov_b64 s[0:1], s[4:5]
	s_mov_b32 s14, 0
	s_cbranch_execnz .LBB7_631
.LBB7_630:                              ;   in Loop: Header=BB7_623 Depth=1
	global_load_dwordx2 v[8:9], v29, s[4:5]
	s_add_i32 s14, s8, -8
.LBB7_631:                              ;   in Loop: Header=BB7_623 Depth=1
	s_add_u32 s10, s0, 8
	s_addc_u32 s11, s1, 0
	s_cmp_gt_u32 s14, 7
	s_cbranch_scc1 .LBB7_635
; %bb.632:                              ;   in Loop: Header=BB7_623 Depth=1
	s_cmp_eq_u32 s14, 0
	s_cbranch_scc1 .LBB7_636
; %bb.633:                              ;   in Loop: Header=BB7_623 Depth=1
	s_mov_b64 s[10:11], 0
	v_mov_b64_e32 v[10:11], 0
	s_mov_b64 s[12:13], 0
.LBB7_634:                              ;   Parent Loop BB7_623 Depth=1
                                        ; =>  This Inner Loop Header: Depth=2
	s_add_u32 s16, s0, s12
	s_addc_u32 s17, s1, s13
	global_load_ubyte v2, v29, s[16:17]
	s_add_u32 s12, s12, 1
	s_addc_u32 s13, s13, 0
	s_waitcnt vmcnt(0)
	v_and_b32_e32 v28, 0xffff, v2
	v_lshlrev_b64 v[2:3], s10, v[28:29]
	s_add_u32 s10, s10, 8
	s_addc_u32 s11, s11, 0
	v_or_b32_e32 v10, v2, v10
	s_cmp_lg_u32 s14, s12
	v_or_b32_e32 v11, v3, v11
	s_cbranch_scc1 .LBB7_634
	s_branch .LBB7_637
.LBB7_635:                              ;   in Loop: Header=BB7_623 Depth=1
                                        ; implicit-def: $vgpr10_vgpr11
	s_mov_b32 s15, 0
	s_branch .LBB7_638
.LBB7_636:                              ;   in Loop: Header=BB7_623 Depth=1
	v_mov_b64_e32 v[10:11], 0
.LBB7_637:                              ;   in Loop: Header=BB7_623 Depth=1
	s_mov_b64 s[10:11], s[0:1]
	s_mov_b32 s15, 0
	s_cbranch_execnz .LBB7_639
.LBB7_638:                              ;   in Loop: Header=BB7_623 Depth=1
	global_load_dwordx2 v[10:11], v29, s[0:1]
	s_add_i32 s15, s14, -8
.LBB7_639:                              ;   in Loop: Header=BB7_623 Depth=1
	s_add_u32 s0, s10, 8
	s_addc_u32 s1, s11, 0
	s_cmp_gt_u32 s15, 7
	s_cbranch_scc1 .LBB7_643
; %bb.640:                              ;   in Loop: Header=BB7_623 Depth=1
	s_cmp_eq_u32 s15, 0
	s_cbranch_scc1 .LBB7_644
; %bb.641:                              ;   in Loop: Header=BB7_623 Depth=1
	s_mov_b64 s[0:1], 0
	v_mov_b64_e32 v[12:13], 0
	s_mov_b64 s[12:13], 0
.LBB7_642:                              ;   Parent Loop BB7_623 Depth=1
                                        ; =>  This Inner Loop Header: Depth=2
	s_add_u32 s16, s10, s12
	s_addc_u32 s17, s11, s13
	global_load_ubyte v2, v29, s[16:17]
	s_add_u32 s12, s12, 1
	s_addc_u32 s13, s13, 0
	s_waitcnt vmcnt(0)
	v_and_b32_e32 v28, 0xffff, v2
	v_lshlrev_b64 v[2:3], s0, v[28:29]
	s_add_u32 s0, s0, 8
	s_addc_u32 s1, s1, 0
	v_or_b32_e32 v12, v2, v12
	s_cmp_lg_u32 s15, s12
	v_or_b32_e32 v13, v3, v13
	s_cbranch_scc1 .LBB7_642
	s_branch .LBB7_645
.LBB7_643:                              ;   in Loop: Header=BB7_623 Depth=1
	s_mov_b32 s14, 0
	s_branch .LBB7_646
.LBB7_644:                              ;   in Loop: Header=BB7_623 Depth=1
	v_mov_b64_e32 v[12:13], 0
.LBB7_645:                              ;   in Loop: Header=BB7_623 Depth=1
	s_mov_b64 s[0:1], s[10:11]
	s_mov_b32 s14, 0
	s_cbranch_execnz .LBB7_647
.LBB7_646:                              ;   in Loop: Header=BB7_623 Depth=1
	global_load_dwordx2 v[12:13], v29, s[10:11]
	s_add_i32 s14, s15, -8
.LBB7_647:                              ;   in Loop: Header=BB7_623 Depth=1
	s_add_u32 s10, s0, 8
	s_addc_u32 s11, s1, 0
	s_cmp_gt_u32 s14, 7
	s_cbranch_scc1 .LBB7_651
; %bb.648:                              ;   in Loop: Header=BB7_623 Depth=1
	s_cmp_eq_u32 s14, 0
	s_cbranch_scc1 .LBB7_652
; %bb.649:                              ;   in Loop: Header=BB7_623 Depth=1
	s_mov_b64 s[10:11], 0
	v_mov_b64_e32 v[14:15], 0
	s_mov_b64 s[12:13], 0
.LBB7_650:                              ;   Parent Loop BB7_623 Depth=1
                                        ; =>  This Inner Loop Header: Depth=2
	s_add_u32 s16, s0, s12
	s_addc_u32 s17, s1, s13
	global_load_ubyte v2, v29, s[16:17]
	s_add_u32 s12, s12, 1
	s_addc_u32 s13, s13, 0
	s_waitcnt vmcnt(0)
	v_and_b32_e32 v28, 0xffff, v2
	v_lshlrev_b64 v[2:3], s10, v[28:29]
	s_add_u32 s10, s10, 8
	s_addc_u32 s11, s11, 0
	v_or_b32_e32 v14, v2, v14
	s_cmp_lg_u32 s14, s12
	v_or_b32_e32 v15, v3, v15
	s_cbranch_scc1 .LBB7_650
	s_branch .LBB7_653
.LBB7_651:                              ;   in Loop: Header=BB7_623 Depth=1
                                        ; implicit-def: $vgpr14_vgpr15
	s_mov_b32 s15, 0
	s_branch .LBB7_654
.LBB7_652:                              ;   in Loop: Header=BB7_623 Depth=1
	v_mov_b64_e32 v[14:15], 0
.LBB7_653:                              ;   in Loop: Header=BB7_623 Depth=1
	s_mov_b64 s[10:11], s[0:1]
	s_mov_b32 s15, 0
	s_cbranch_execnz .LBB7_655
.LBB7_654:                              ;   in Loop: Header=BB7_623 Depth=1
	global_load_dwordx2 v[14:15], v29, s[0:1]
	s_add_i32 s15, s14, -8
.LBB7_655:                              ;   in Loop: Header=BB7_623 Depth=1
	s_add_u32 s0, s10, 8
	s_addc_u32 s1, s11, 0
	s_cmp_gt_u32 s15, 7
	s_cbranch_scc1 .LBB7_659
; %bb.656:                              ;   in Loop: Header=BB7_623 Depth=1
	s_cmp_eq_u32 s15, 0
	s_cbranch_scc1 .LBB7_660
; %bb.657:                              ;   in Loop: Header=BB7_623 Depth=1
	s_mov_b64 s[0:1], 0
	v_mov_b64_e32 v[16:17], 0
	s_mov_b64 s[12:13], 0
.LBB7_658:                              ;   Parent Loop BB7_623 Depth=1
                                        ; =>  This Inner Loop Header: Depth=2
	s_add_u32 s16, s10, s12
	s_addc_u32 s17, s11, s13
	global_load_ubyte v2, v29, s[16:17]
	s_add_u32 s12, s12, 1
	s_addc_u32 s13, s13, 0
	s_waitcnt vmcnt(0)
	v_and_b32_e32 v28, 0xffff, v2
	v_lshlrev_b64 v[2:3], s0, v[28:29]
	s_add_u32 s0, s0, 8
	s_addc_u32 s1, s1, 0
	v_or_b32_e32 v16, v2, v16
	s_cmp_lg_u32 s15, s12
	v_or_b32_e32 v17, v3, v17
	s_cbranch_scc1 .LBB7_658
	s_branch .LBB7_661
.LBB7_659:                              ;   in Loop: Header=BB7_623 Depth=1
	s_mov_b32 s14, 0
	s_branch .LBB7_662
.LBB7_660:                              ;   in Loop: Header=BB7_623 Depth=1
	v_mov_b64_e32 v[16:17], 0
.LBB7_661:                              ;   in Loop: Header=BB7_623 Depth=1
	s_mov_b64 s[0:1], s[10:11]
	s_mov_b32 s14, 0
	s_cbranch_execnz .LBB7_663
.LBB7_662:                              ;   in Loop: Header=BB7_623 Depth=1
	global_load_dwordx2 v[16:17], v29, s[10:11]
	s_add_i32 s14, s15, -8
.LBB7_663:                              ;   in Loop: Header=BB7_623 Depth=1
	s_add_u32 s10, s0, 8
	s_addc_u32 s11, s1, 0
	s_cmp_gt_u32 s14, 7
	s_cbranch_scc1 .LBB7_667
; %bb.664:                              ;   in Loop: Header=BB7_623 Depth=1
	s_cmp_eq_u32 s14, 0
	s_cbranch_scc1 .LBB7_668
; %bb.665:                              ;   in Loop: Header=BB7_623 Depth=1
	s_mov_b64 s[10:11], 0
	v_mov_b64_e32 v[18:19], 0
	s_mov_b64 s[12:13], 0
.LBB7_666:                              ;   Parent Loop BB7_623 Depth=1
                                        ; =>  This Inner Loop Header: Depth=2
	s_add_u32 s16, s0, s12
	s_addc_u32 s17, s1, s13
	global_load_ubyte v2, v29, s[16:17]
	s_add_u32 s12, s12, 1
	s_addc_u32 s13, s13, 0
	s_waitcnt vmcnt(0)
	v_and_b32_e32 v28, 0xffff, v2
	v_lshlrev_b64 v[2:3], s10, v[28:29]
	s_add_u32 s10, s10, 8
	s_addc_u32 s11, s11, 0
	v_or_b32_e32 v18, v2, v18
	s_cmp_lg_u32 s14, s12
	v_or_b32_e32 v19, v3, v19
	s_cbranch_scc1 .LBB7_666
	s_branch .LBB7_669
.LBB7_667:                              ;   in Loop: Header=BB7_623 Depth=1
                                        ; implicit-def: $vgpr18_vgpr19
	s_mov_b32 s15, 0
	s_branch .LBB7_670
.LBB7_668:                              ;   in Loop: Header=BB7_623 Depth=1
	v_mov_b64_e32 v[18:19], 0
.LBB7_669:                              ;   in Loop: Header=BB7_623 Depth=1
	s_mov_b64 s[10:11], s[0:1]
	s_mov_b32 s15, 0
	s_cbranch_execnz .LBB7_671
.LBB7_670:                              ;   in Loop: Header=BB7_623 Depth=1
	global_load_dwordx2 v[18:19], v29, s[0:1]
	s_add_i32 s15, s14, -8
.LBB7_671:                              ;   in Loop: Header=BB7_623 Depth=1
	s_cmp_gt_u32 s15, 7
	s_cbranch_scc1 .LBB7_675
; %bb.672:                              ;   in Loop: Header=BB7_623 Depth=1
	s_cmp_eq_u32 s15, 0
	s_cbranch_scc1 .LBB7_676
; %bb.673:                              ;   in Loop: Header=BB7_623 Depth=1
	s_mov_b64 s[0:1], 0
	v_mov_b64_e32 v[20:21], 0
	s_mov_b64 s[12:13], s[10:11]
.LBB7_674:                              ;   Parent Loop BB7_623 Depth=1
                                        ; =>  This Inner Loop Header: Depth=2
	global_load_ubyte v2, v29, s[12:13]
	s_add_i32 s15, s15, -1
	s_waitcnt vmcnt(0)
	v_and_b32_e32 v28, 0xffff, v2
	v_lshlrev_b64 v[2:3], s0, v[28:29]
	s_add_u32 s0, s0, 8
	s_addc_u32 s1, s1, 0
	s_add_u32 s12, s12, 1
	s_addc_u32 s13, s13, 0
	v_or_b32_e32 v20, v2, v20
	s_cmp_lg_u32 s15, 0
	v_or_b32_e32 v21, v3, v21
	s_cbranch_scc1 .LBB7_674
	s_branch .LBB7_677
.LBB7_675:                              ;   in Loop: Header=BB7_623 Depth=1
	s_branch .LBB7_678
.LBB7_676:                              ;   in Loop: Header=BB7_623 Depth=1
	v_mov_b64_e32 v[20:21], 0
.LBB7_677:                              ;   in Loop: Header=BB7_623 Depth=1
	s_cbranch_execnz .LBB7_679
.LBB7_678:                              ;   in Loop: Header=BB7_623 Depth=1
	global_load_dwordx2 v[20:21], v29, s[10:11]
.LBB7_679:                              ;   in Loop: Header=BB7_623 Depth=1
	v_readfirstlane_b32 s0, v32
	v_mov_b64_e32 v[2:3], 0
	s_nop 0
	v_cmp_eq_u32_e64 s[0:1], s0, v32
	s_and_saveexec_b64 s[10:11], s[0:1]
	s_cbranch_execz .LBB7_685
; %bb.680:                              ;   in Loop: Header=BB7_623 Depth=1
	global_load_dwordx2 v[24:25], v29, s[2:3] offset:24 sc0 sc1
	s_waitcnt vmcnt(0)
	buffer_inv sc0 sc1
	global_load_dwordx2 v[2:3], v29, s[2:3] offset:40
	global_load_dwordx2 v[22:23], v29, s[2:3]
	s_waitcnt vmcnt(1)
	v_and_b32_e32 v2, v2, v24
	v_and_b32_e32 v3, v3, v25
	v_mul_lo_u32 v3, v3, 24
	v_mul_hi_u32 v27, v2, 24
	v_add_u32_e32 v3, v27, v3
	v_mul_lo_u32 v2, v2, 24
	s_waitcnt vmcnt(0)
	v_lshl_add_u64 v[2:3], v[22:23], 0, v[2:3]
	global_load_dwordx2 v[22:23], v[2:3], off sc0 sc1
	s_waitcnt vmcnt(0)
	global_atomic_cmpswap_x2 v[2:3], v29, v[22:25], s[2:3] offset:24 sc0 sc1
	s_waitcnt vmcnt(0)
	buffer_inv sc0 sc1
	v_cmp_ne_u64_e32 vcc, v[2:3], v[24:25]
	s_and_saveexec_b64 s[12:13], vcc
	s_cbranch_execz .LBB7_684
; %bb.681:                              ;   in Loop: Header=BB7_623 Depth=1
	s_mov_b64 s[14:15], 0
.LBB7_682:                              ;   Parent Loop BB7_623 Depth=1
                                        ; =>  This Inner Loop Header: Depth=2
	s_sleep 1
	global_load_dwordx2 v[22:23], v29, s[2:3] offset:40
	global_load_dwordx2 v[30:31], v29, s[2:3]
	v_mov_b64_e32 v[24:25], v[2:3]
	s_waitcnt vmcnt(1)
	v_and_b32_e32 v2, v22, v24
	s_waitcnt vmcnt(0)
	v_mad_u64_u32 v[2:3], s[16:17], v2, 24, v[30:31]
	v_and_b32_e32 v23, v23, v25
	v_mov_b32_e32 v22, v3
	v_mad_u64_u32 v[22:23], s[16:17], v23, 24, v[22:23]
	v_mov_b32_e32 v3, v22
	global_load_dwordx2 v[22:23], v[2:3], off sc0 sc1
	s_waitcnt vmcnt(0)
	global_atomic_cmpswap_x2 v[2:3], v29, v[22:25], s[2:3] offset:24 sc0 sc1
	s_waitcnt vmcnt(0)
	buffer_inv sc0 sc1
	v_cmp_eq_u64_e32 vcc, v[2:3], v[24:25]
	s_or_b64 s[14:15], vcc, s[14:15]
	s_andn2_b64 exec, exec, s[14:15]
	s_cbranch_execnz .LBB7_682
; %bb.683:                              ;   in Loop: Header=BB7_623 Depth=1
	s_or_b64 exec, exec, s[14:15]
.LBB7_684:                              ;   in Loop: Header=BB7_623 Depth=1
	s_or_b64 exec, exec, s[12:13]
.LBB7_685:                              ;   in Loop: Header=BB7_623 Depth=1
	s_or_b64 exec, exec, s[10:11]
	global_load_dwordx2 v[30:31], v29, s[2:3] offset:40
	global_load_dwordx4 v[22:25], v29, s[2:3]
	v_readfirstlane_b32 s11, v3
	v_readfirstlane_b32 s10, v2
	s_mov_b64 s[12:13], exec
	s_waitcnt vmcnt(1)
	v_readfirstlane_b32 s14, v30
	v_readfirstlane_b32 s15, v31
	s_and_b64 s[14:15], s[14:15], s[10:11]
	s_mul_i32 s16, s15, 24
	s_mul_hi_u32 s17, s14, 24
	s_add_i32 s17, s17, s16
	s_mul_i32 s16, s14, 24
	s_waitcnt vmcnt(0)
	v_lshl_add_u64 v[30:31], v[22:23], 0, s[16:17]
	s_and_saveexec_b64 s[16:17], s[0:1]
	s_cbranch_execz .LBB7_687
; %bb.686:                              ;   in Loop: Header=BB7_623 Depth=1
	v_mov_b64_e32 v[2:3], s[12:13]
	global_store_dwordx4 v[30:31], v[2:5], off offset:8
.LBB7_687:                              ;   in Loop: Header=BB7_623 Depth=1
	s_or_b64 exec, exec, s[16:17]
	s_lshl_b64 s[12:13], s[14:15], 12
	v_lshl_add_u64 v[2:3], v[24:25], 0, s[12:13]
	v_cmp_gt_u64_e64 s[12:13], s[6:7], 56
	s_and_b64 s[12:13], s[12:13], exec
	s_cselect_b32 s12, 0, 2
	s_lshl_b32 s13, s8, 2
	s_add_i32 s13, s13, 28
	v_and_b32_e32 v6, 0xffffff1f, v6
	s_and_b32 s13, s13, 0x1e0
	v_or_b32_e32 v6, s12, v6
	v_or_b32_e32 v6, s13, v6
	v_readfirstlane_b32 s12, v2
	v_readfirstlane_b32 s13, v3
	s_nop 4
	global_store_dwordx4 v26, v[6:9], s[12:13]
	global_store_dwordx4 v26, v[10:13], s[12:13] offset:16
	global_store_dwordx4 v26, v[14:17], s[12:13] offset:32
	;; [unrolled: 1-line block ×3, first 2 shown]
	s_and_saveexec_b64 s[12:13], s[0:1]
	s_cbranch_execz .LBB7_695
; %bb.688:                              ;   in Loop: Header=BB7_623 Depth=1
	global_load_dwordx2 v[14:15], v29, s[2:3] offset:32 sc0 sc1
	global_load_dwordx2 v[6:7], v29, s[2:3] offset:40
	v_mov_b32_e32 v12, s10
	v_mov_b32_e32 v13, s11
	s_waitcnt vmcnt(0)
	v_readfirstlane_b32 s14, v6
	v_readfirstlane_b32 s15, v7
	s_and_b64 s[14:15], s[14:15], s[10:11]
	s_mul_i32 s15, s15, 24
	s_mul_hi_u32 s16, s14, 24
	s_mul_i32 s14, s14, 24
	s_add_i32 s15, s16, s15
	v_lshl_add_u64 v[10:11], v[22:23], 0, s[14:15]
	global_store_dwordx2 v[10:11], v[14:15], off
	buffer_wbl2 sc0 sc1
	s_waitcnt vmcnt(0)
	global_atomic_cmpswap_x2 v[8:9], v29, v[12:15], s[2:3] offset:32 sc0 sc1
	s_waitcnt vmcnt(0)
	v_cmp_ne_u64_e32 vcc, v[8:9], v[14:15]
	s_and_saveexec_b64 s[14:15], vcc
	s_cbranch_execz .LBB7_691
; %bb.689:                              ;   in Loop: Header=BB7_623 Depth=1
	s_mov_b64 s[16:17], 0
.LBB7_690:                              ;   Parent Loop BB7_623 Depth=1
                                        ; =>  This Inner Loop Header: Depth=2
	s_sleep 1
	global_store_dwordx2 v[10:11], v[8:9], off
	v_mov_b32_e32 v6, s10
	v_mov_b32_e32 v7, s11
	buffer_wbl2 sc0 sc1
	s_waitcnt vmcnt(0)
	global_atomic_cmpswap_x2 v[6:7], v29, v[6:9], s[2:3] offset:32 sc0 sc1
	s_waitcnt vmcnt(0)
	v_cmp_eq_u64_e32 vcc, v[6:7], v[8:9]
	s_or_b64 s[16:17], vcc, s[16:17]
	v_mov_b64_e32 v[8:9], v[6:7]
	s_andn2_b64 exec, exec, s[16:17]
	s_cbranch_execnz .LBB7_690
.LBB7_691:                              ;   in Loop: Header=BB7_623 Depth=1
	s_or_b64 exec, exec, s[14:15]
	global_load_dwordx2 v[6:7], v29, s[2:3] offset:16
	s_mov_b64 s[16:17], exec
	v_mbcnt_lo_u32_b32 v8, s16, 0
	v_mbcnt_hi_u32_b32 v8, s17, v8
	v_cmp_eq_u32_e32 vcc, 0, v8
	s_and_saveexec_b64 s[14:15], vcc
	s_cbranch_execz .LBB7_693
; %bb.692:                              ;   in Loop: Header=BB7_623 Depth=1
	s_bcnt1_i32_b64 s16, s[16:17]
	v_mov_b32_e32 v28, s16
	buffer_wbl2 sc0 sc1
	s_waitcnt vmcnt(0)
	global_atomic_add_x2 v[6:7], v[28:29], off offset:8 sc1
.LBB7_693:                              ;   in Loop: Header=BB7_623 Depth=1
	s_or_b64 exec, exec, s[14:15]
	s_waitcnt vmcnt(0)
	global_load_dwordx2 v[8:9], v[6:7], off offset:16
	s_waitcnt vmcnt(0)
	v_cmp_eq_u64_e32 vcc, 0, v[8:9]
	s_cbranch_vccnz .LBB7_695
; %bb.694:                              ;   in Loop: Header=BB7_623 Depth=1
	global_load_dword v28, v[6:7], off offset:24
	s_waitcnt vmcnt(0)
	v_readfirstlane_b32 s14, v28
	s_and_b32 m0, s14, 0xffffff
	buffer_wbl2 sc0 sc1
	global_store_dwordx2 v[8:9], v[28:29], off sc0 sc1
	s_sendmsg sendmsg(MSG_INTERRUPT)
.LBB7_695:                              ;   in Loop: Header=BB7_623 Depth=1
	s_or_b64 exec, exec, s[12:13]
	v_mov_b32_e32 v27, v29
	v_lshl_add_u64 v[2:3], v[2:3], 0, v[26:27]
	s_branch .LBB7_699
.LBB7_696:                              ;   in Loop: Header=BB7_699 Depth=2
	s_or_b64 exec, exec, s[12:13]
	v_readfirstlane_b32 s12, v6
	s_cmp_eq_u32 s12, 0
	s_cbranch_scc1 .LBB7_698
; %bb.697:                              ;   in Loop: Header=BB7_699 Depth=2
	s_sleep 1
	s_cbranch_execnz .LBB7_699
	s_branch .LBB7_701
.LBB7_698:                              ;   in Loop: Header=BB7_623 Depth=1
	s_branch .LBB7_701
.LBB7_699:                              ;   Parent Loop BB7_623 Depth=1
                                        ; =>  This Inner Loop Header: Depth=2
	v_mov_b32_e32 v6, 1
	s_and_saveexec_b64 s[12:13], s[0:1]
	s_cbranch_execz .LBB7_696
; %bb.700:                              ;   in Loop: Header=BB7_699 Depth=2
	global_load_dword v6, v[30:31], off offset:20 sc0 sc1
	s_waitcnt vmcnt(0)
	buffer_inv sc0 sc1
	v_and_b32_e32 v6, 1, v6
	s_branch .LBB7_696
.LBB7_701:                              ;   in Loop: Header=BB7_623 Depth=1
	global_load_dwordx4 v[6:9], v[2:3], off
	s_and_saveexec_b64 s[12:13], s[0:1]
	s_cbranch_execz .LBB7_622
; %bb.702:                              ;   in Loop: Header=BB7_623 Depth=1
	global_load_dwordx2 v[2:3], v29, s[2:3] offset:40
	global_load_dwordx2 v[12:13], v29, s[2:3] offset:24 sc0 sc1
	global_load_dwordx2 v[8:9], v29, s[2:3]
	s_waitcnt vmcnt(2)
	v_readfirstlane_b32 s14, v2
	v_readfirstlane_b32 s15, v3
	s_add_u32 s16, s14, 1
	s_addc_u32 s17, s15, 0
	s_add_u32 s0, s16, s10
	s_addc_u32 s1, s17, s11
	s_cmp_eq_u64 s[0:1], 0
	s_cselect_b32 s1, s17, s1
	s_cselect_b32 s0, s16, s0
	s_and_b64 s[10:11], s[0:1], s[14:15]
	s_mul_i32 s11, s11, 24
	s_mul_hi_u32 s14, s10, 24
	s_mul_i32 s10, s10, 24
	s_add_i32 s11, s14, s11
	s_waitcnt vmcnt(0)
	v_lshl_add_u64 v[2:3], v[8:9], 0, s[10:11]
	v_mov_b32_e32 v10, s0
	global_store_dwordx2 v[2:3], v[12:13], off
	v_mov_b32_e32 v11, s1
	buffer_wbl2 sc0 sc1
	s_waitcnt vmcnt(0)
	global_atomic_cmpswap_x2 v[10:11], v29, v[10:13], s[2:3] offset:24 sc0 sc1
	s_waitcnt vmcnt(0)
	v_cmp_ne_u64_e32 vcc, v[10:11], v[12:13]
	s_and_b64 exec, exec, vcc
	s_cbranch_execz .LBB7_622
; %bb.703:                              ;   in Loop: Header=BB7_623 Depth=1
	s_mov_b64 s[10:11], 0
.LBB7_704:                              ;   Parent Loop BB7_623 Depth=1
                                        ; =>  This Inner Loop Header: Depth=2
	s_sleep 1
	global_store_dwordx2 v[2:3], v[10:11], off
	v_mov_b32_e32 v8, s0
	v_mov_b32_e32 v9, s1
	buffer_wbl2 sc0 sc1
	s_waitcnt vmcnt(0)
	global_atomic_cmpswap_x2 v[8:9], v29, v[8:11], s[2:3] offset:24 sc0 sc1
	s_waitcnt vmcnt(0)
	v_cmp_eq_u64_e32 vcc, v[8:9], v[10:11]
	s_or_b64 s[10:11], vcc, s[10:11]
	v_mov_b64_e32 v[10:11], v[8:9]
	s_andn2_b64 exec, exec, s[10:11]
	s_cbranch_execnz .LBB7_704
	s_branch .LBB7_622
.LBB7_705:
	s_branch .LBB7_735
.LBB7_706:
	s_branch .LBB7_765
.LBB7_707:
	s_branch .LBB7_794
.LBB7_708:
	s_cbranch_execz .LBB7_735
; %bb.709:
	v_readfirstlane_b32 s0, v32
	s_waitcnt vmcnt(0)
	v_mov_b64_e32 v[8:9], 0
	v_cmp_eq_u32_e64 s[0:1], s0, v32
	s_and_saveexec_b64 s[4:5], s[0:1]
	s_cbranch_execz .LBB7_715
; %bb.710:
	v_mov_b32_e32 v2, 0
	global_load_dwordx2 v[6:7], v2, s[2:3] offset:24 sc0 sc1
	s_waitcnt vmcnt(0)
	buffer_inv sc0 sc1
	global_load_dwordx2 v[4:5], v2, s[2:3] offset:40
	global_load_dwordx2 v[8:9], v2, s[2:3]
	s_waitcnt vmcnt(1)
	v_and_b32_e32 v3, v4, v6
	v_and_b32_e32 v4, v5, v7
	v_mul_lo_u32 v4, v4, 24
	v_mul_hi_u32 v5, v3, 24
	v_add_u32_e32 v5, v5, v4
	v_mul_lo_u32 v4, v3, 24
	s_waitcnt vmcnt(0)
	v_lshl_add_u64 v[4:5], v[8:9], 0, v[4:5]
	global_load_dwordx2 v[4:5], v[4:5], off sc0 sc1
	s_waitcnt vmcnt(0)
	global_atomic_cmpswap_x2 v[8:9], v2, v[4:7], s[2:3] offset:24 sc0 sc1
	s_waitcnt vmcnt(0)
	buffer_inv sc0 sc1
	v_cmp_ne_u64_e32 vcc, v[8:9], v[6:7]
	s_and_saveexec_b64 s[6:7], vcc
	s_cbranch_execz .LBB7_714
; %bb.711:
	s_mov_b64 s[8:9], 0
.LBB7_712:                              ; =>This Inner Loop Header: Depth=1
	s_sleep 1
	global_load_dwordx2 v[4:5], v2, s[2:3] offset:40
	global_load_dwordx2 v[10:11], v2, s[2:3]
	v_mov_b64_e32 v[6:7], v[8:9]
	s_waitcnt vmcnt(1)
	v_and_b32_e32 v4, v4, v6
	v_and_b32_e32 v3, v5, v7
	s_waitcnt vmcnt(0)
	v_mad_u64_u32 v[4:5], s[10:11], v4, 24, v[10:11]
	v_mov_b32_e32 v8, v5
	v_mad_u64_u32 v[8:9], s[10:11], v3, 24, v[8:9]
	v_mov_b32_e32 v5, v8
	global_load_dwordx2 v[4:5], v[4:5], off sc0 sc1
	s_waitcnt vmcnt(0)
	global_atomic_cmpswap_x2 v[8:9], v2, v[4:7], s[2:3] offset:24 sc0 sc1
	s_waitcnt vmcnt(0)
	buffer_inv sc0 sc1
	v_cmp_eq_u64_e32 vcc, v[8:9], v[6:7]
	s_or_b64 s[8:9], vcc, s[8:9]
	s_andn2_b64 exec, exec, s[8:9]
	s_cbranch_execnz .LBB7_712
; %bb.713:
	s_or_b64 exec, exec, s[8:9]
.LBB7_714:
	s_or_b64 exec, exec, s[6:7]
.LBB7_715:
	s_or_b64 exec, exec, s[4:5]
	v_mov_b32_e32 v2, 0
	global_load_dwordx2 v[10:11], v2, s[2:3] offset:40
	global_load_dwordx4 v[4:7], v2, s[2:3]
	v_readfirstlane_b32 s5, v9
	v_readfirstlane_b32 s4, v8
	s_mov_b64 s[6:7], exec
	s_waitcnt vmcnt(1)
	v_readfirstlane_b32 s8, v10
	v_readfirstlane_b32 s9, v11
	s_and_b64 s[8:9], s[8:9], s[4:5]
	s_mul_i32 s10, s9, 24
	s_mul_hi_u32 s11, s8, 24
	s_add_i32 s11, s11, s10
	s_mul_i32 s10, s8, 24
	s_waitcnt vmcnt(0)
	v_lshl_add_u64 v[8:9], v[4:5], 0, s[10:11]
	s_and_saveexec_b64 s[10:11], s[0:1]
	s_cbranch_execz .LBB7_717
; %bb.716:
	v_mov_b64_e32 v[10:11], s[6:7]
	v_mov_b32_e32 v12, 2
	v_mov_b32_e32 v13, 1
	global_store_dwordx4 v[8:9], v[10:13], off offset:8
.LBB7_717:
	s_or_b64 exec, exec, s[10:11]
	s_lshl_b64 s[6:7], s[8:9], 12
	v_lshl_add_u64 v[6:7], v[6:7], 0, s[6:7]
	s_movk_i32 s6, 0xff1d
	s_mov_b32 s8, 0
	v_and_or_b32 v0, v0, s6, 34
	v_mov_b32_e32 v3, v2
	v_readfirstlane_b32 s6, v6
	v_readfirstlane_b32 s7, v7
	s_mov_b32 s9, s8
	s_mov_b32 s10, s8
	;; [unrolled: 1-line block ×3, first 2 shown]
	s_nop 1
	global_store_dwordx4 v26, v[0:3], s[6:7]
	s_nop 1
	v_mov_b64_e32 v[0:1], s[8:9]
	v_mov_b64_e32 v[2:3], s[10:11]
	global_store_dwordx4 v26, v[0:3], s[6:7] offset:16
	global_store_dwordx4 v26, v[0:3], s[6:7] offset:32
	;; [unrolled: 1-line block ×3, first 2 shown]
	s_and_saveexec_b64 s[6:7], s[0:1]
	s_cbranch_execz .LBB7_725
; %bb.718:
	v_mov_b32_e32 v6, 0
	global_load_dwordx2 v[12:13], v6, s[2:3] offset:32 sc0 sc1
	global_load_dwordx2 v[0:1], v6, s[2:3] offset:40
	v_mov_b32_e32 v10, s4
	v_mov_b32_e32 v11, s5
	s_waitcnt vmcnt(0)
	v_readfirstlane_b32 s8, v0
	v_readfirstlane_b32 s9, v1
	s_and_b64 s[8:9], s[8:9], s[4:5]
	s_mul_i32 s9, s9, 24
	s_mul_hi_u32 s10, s8, 24
	s_mul_i32 s8, s8, 24
	s_add_i32 s9, s10, s9
	v_lshl_add_u64 v[4:5], v[4:5], 0, s[8:9]
	global_store_dwordx2 v[4:5], v[12:13], off
	buffer_wbl2 sc0 sc1
	s_waitcnt vmcnt(0)
	global_atomic_cmpswap_x2 v[2:3], v6, v[10:13], s[2:3] offset:32 sc0 sc1
	s_waitcnt vmcnt(0)
	v_cmp_ne_u64_e32 vcc, v[2:3], v[12:13]
	s_and_saveexec_b64 s[8:9], vcc
	s_cbranch_execz .LBB7_721
; %bb.719:
	s_mov_b64 s[10:11], 0
.LBB7_720:                              ; =>This Inner Loop Header: Depth=1
	s_sleep 1
	global_store_dwordx2 v[4:5], v[2:3], off
	v_mov_b32_e32 v0, s4
	v_mov_b32_e32 v1, s5
	buffer_wbl2 sc0 sc1
	s_waitcnt vmcnt(0)
	global_atomic_cmpswap_x2 v[0:1], v6, v[0:3], s[2:3] offset:32 sc0 sc1
	s_waitcnt vmcnt(0)
	v_cmp_eq_u64_e32 vcc, v[0:1], v[2:3]
	s_or_b64 s[10:11], vcc, s[10:11]
	v_mov_b64_e32 v[2:3], v[0:1]
	s_andn2_b64 exec, exec, s[10:11]
	s_cbranch_execnz .LBB7_720
.LBB7_721:
	s_or_b64 exec, exec, s[8:9]
	v_mov_b32_e32 v3, 0
	global_load_dwordx2 v[0:1], v3, s[2:3] offset:16
	s_mov_b64 s[8:9], exec
	v_mbcnt_lo_u32_b32 v2, s8, 0
	v_mbcnt_hi_u32_b32 v2, s9, v2
	v_cmp_eq_u32_e32 vcc, 0, v2
	s_and_saveexec_b64 s[10:11], vcc
	s_cbranch_execz .LBB7_723
; %bb.722:
	s_bcnt1_i32_b64 s8, s[8:9]
	v_mov_b32_e32 v2, s8
	buffer_wbl2 sc0 sc1
	s_waitcnt vmcnt(0)
	global_atomic_add_x2 v[0:1], v[2:3], off offset:8 sc1
.LBB7_723:
	s_or_b64 exec, exec, s[10:11]
	s_waitcnt vmcnt(0)
	global_load_dwordx2 v[2:3], v[0:1], off offset:16
	s_waitcnt vmcnt(0)
	v_cmp_eq_u64_e32 vcc, 0, v[2:3]
	s_cbranch_vccnz .LBB7_725
; %bb.724:
	global_load_dword v0, v[0:1], off offset:24
	v_mov_b32_e32 v1, 0
	s_waitcnt vmcnt(0)
	v_readfirstlane_b32 s8, v0
	s_and_b32 m0, s8, 0xffffff
	buffer_wbl2 sc0 sc1
	global_store_dwordx2 v[2:3], v[0:1], off sc0 sc1
	s_sendmsg sendmsg(MSG_INTERRUPT)
.LBB7_725:
	s_or_b64 exec, exec, s[6:7]
	s_branch .LBB7_729
.LBB7_726:                              ;   in Loop: Header=BB7_729 Depth=1
	s_or_b64 exec, exec, s[6:7]
	v_readfirstlane_b32 s6, v0
	s_cmp_eq_u32 s6, 0
	s_cbranch_scc1 .LBB7_728
; %bb.727:                              ;   in Loop: Header=BB7_729 Depth=1
	s_sleep 1
	s_cbranch_execnz .LBB7_729
	s_branch .LBB7_731
.LBB7_728:
	s_branch .LBB7_731
.LBB7_729:                              ; =>This Inner Loop Header: Depth=1
	v_mov_b32_e32 v0, 1
	s_and_saveexec_b64 s[6:7], s[0:1]
	s_cbranch_execz .LBB7_726
; %bb.730:                              ;   in Loop: Header=BB7_729 Depth=1
	global_load_dword v0, v[8:9], off offset:20 sc0 sc1
	s_waitcnt vmcnt(0)
	buffer_inv sc0 sc1
	v_and_b32_e32 v0, 1, v0
	s_branch .LBB7_726
.LBB7_731:
	s_and_saveexec_b64 s[6:7], s[0:1]
	s_cbranch_execz .LBB7_734
; %bb.732:
	v_mov_b32_e32 v6, 0
	global_load_dwordx2 v[0:1], v6, s[2:3] offset:40
	global_load_dwordx2 v[10:11], v6, s[2:3] offset:24 sc0 sc1
	global_load_dwordx2 v[2:3], v6, s[2:3]
	s_waitcnt vmcnt(2)
	v_readfirstlane_b32 s8, v0
	v_readfirstlane_b32 s9, v1
	s_add_u32 s10, s8, 1
	s_addc_u32 s11, s9, 0
	s_add_u32 s0, s10, s4
	s_addc_u32 s1, s11, s5
	s_cmp_eq_u64 s[0:1], 0
	s_cselect_b32 s1, s11, s1
	s_cselect_b32 s0, s10, s0
	s_and_b64 s[4:5], s[0:1], s[8:9]
	s_mul_i32 s5, s5, 24
	s_mul_hi_u32 s8, s4, 24
	s_mul_i32 s4, s4, 24
	s_add_i32 s5, s8, s5
	s_waitcnt vmcnt(0)
	v_lshl_add_u64 v[4:5], v[2:3], 0, s[4:5]
	v_mov_b32_e32 v8, s0
	global_store_dwordx2 v[4:5], v[10:11], off
	v_mov_b32_e32 v9, s1
	buffer_wbl2 sc0 sc1
	s_waitcnt vmcnt(0)
	global_atomic_cmpswap_x2 v[2:3], v6, v[8:11], s[2:3] offset:24 sc0 sc1
	s_mov_b64 s[4:5], 0
	s_waitcnt vmcnt(0)
	v_cmp_ne_u64_e32 vcc, v[2:3], v[10:11]
	s_and_b64 exec, exec, vcc
	s_cbranch_execz .LBB7_734
.LBB7_733:                              ; =>This Inner Loop Header: Depth=1
	s_sleep 1
	global_store_dwordx2 v[4:5], v[2:3], off
	v_mov_b32_e32 v0, s0
	v_mov_b32_e32 v1, s1
	buffer_wbl2 sc0 sc1
	s_waitcnt vmcnt(0)
	global_atomic_cmpswap_x2 v[0:1], v6, v[0:3], s[2:3] offset:24 sc0 sc1
	s_waitcnt vmcnt(0)
	v_cmp_eq_u64_e32 vcc, v[0:1], v[2:3]
	s_or_b64 s[4:5], vcc, s[4:5]
	v_mov_b64_e32 v[2:3], v[0:1]
	s_andn2_b64 exec, exec, s[4:5]
	s_cbranch_execnz .LBB7_733
.LBB7_734:
	s_or_b64 exec, exec, s[6:7]
.LBB7_735:
	s_add_u32 s8, s84, 0x80
	s_addc_u32 s9, s85, 0
	s_getpc_b64 s[0:1]
	s_add_u32 s0, s0, .str.29@rel32@lo+4
	s_addc_u32 s1, s1, .str.29@rel32@hi+12
	s_getpc_b64 s[2:3]
	s_add_u32 s2, s2, .str.19@rel32@lo+4
	s_addc_u32 s3, s3, .str.19@rel32@hi+12
	s_getpc_b64 s[4:5]
	s_add_u32 s4, s4, __PRETTY_FUNCTION__._ZN7VecsMemIjLi8192EE5fetchEi@rel32@lo+4
	s_addc_u32 s5, s5, __PRETTY_FUNCTION__._ZN7VecsMemIjLi8192EE5fetchEi@rel32@hi+12
	s_getpc_b64 s[6:7]
	s_add_u32 s6, s6, __assert_fail@rel32@lo+4
	s_addc_u32 s7, s7, __assert_fail@rel32@hi+12
	s_waitcnt vmcnt(0)
	v_mov_b32_e32 v0, s0
	v_mov_b32_e32 v1, s1
	;; [unrolled: 1-line block ×7, first 2 shown]
	s_swappc_b64 s[30:31], s[6:7]
	s_or_b64 s[22:23], s[22:23], exec
	s_or_b64 exec, exec, s[62:63]
	s_and_saveexec_b64 s[0:1], s[60:61]
	s_xor_b64 s[60:61], exec, s[0:1]
	s_cbranch_execz .LBB7_343
.LBB7_736:
	s_add_u32 s8, s84, 0x80
	s_addc_u32 s9, s85, 0
	s_getpc_b64 s[0:1]
	s_add_u32 s0, s0, .str.18@rel32@lo+4
	s_addc_u32 s1, s1, .str.18@rel32@hi+12
	s_getpc_b64 s[2:3]
	s_add_u32 s2, s2, .str.19@rel32@lo+4
	s_addc_u32 s3, s3, .str.19@rel32@hi+12
	s_getpc_b64 s[4:5]
	s_add_u32 s4, s4, __PRETTY_FUNCTION__._ZN7VecsMemIjLi8192EE6shrinkEi@rel32@lo+4
	s_addc_u32 s5, s5, __PRETTY_FUNCTION__._ZN7VecsMemIjLi8192EE6shrinkEi@rel32@hi+12
	s_getpc_b64 s[6:7]
	s_add_u32 s6, s6, __assert_fail@rel32@lo+4
	s_addc_u32 s7, s7, __assert_fail@rel32@hi+12
	v_mov_b32_e32 v0, s0
	v_mov_b32_e32 v1, s1
	;; [unrolled: 1-line block ×6, first 2 shown]
	s_waitcnt vmcnt(0)
	v_mov_b32_e32 v6, s5
	s_swappc_b64 s[30:31], s[6:7]
	s_or_b64 s[22:23], s[22:23], exec
	s_or_b64 exec, exec, s[60:61]
	s_and_saveexec_b64 s[0:1], s[58:59]
	s_xor_b64 s[58:59], exec, s[0:1]
	s_cbranch_execz .LBB7_344
.LBB7_737:
	s_add_u32 s8, s84, 0x80
	s_addc_u32 s9, s85, 0
	s_getpc_b64 s[0:1]
	s_add_u32 s0, s0, .str.18@rel32@lo+4
	s_addc_u32 s1, s1, .str.18@rel32@hi+12
	s_getpc_b64 s[2:3]
	s_add_u32 s2, s2, .str.19@rel32@lo+4
	s_addc_u32 s3, s3, .str.19@rel32@hi+12
	s_getpc_b64 s[4:5]
	s_add_u32 s4, s4, __PRETTY_FUNCTION__._ZN7VecsMemIjLi8192EE6shrinkEi@rel32@lo+4
	s_addc_u32 s5, s5, __PRETTY_FUNCTION__._ZN7VecsMemIjLi8192EE6shrinkEi@rel32@hi+12
	s_getpc_b64 s[6:7]
	s_add_u32 s6, s6, __assert_fail@rel32@lo+4
	s_addc_u32 s7, s7, __assert_fail@rel32@hi+12
	v_mov_b32_e32 v0, s0
	v_mov_b32_e32 v1, s1
	;; [unrolled: 1-line block ×6, first 2 shown]
	s_waitcnt vmcnt(0)
	v_mov_b32_e32 v6, s5
	s_swappc_b64 s[30:31], s[6:7]
	s_or_b64 s[22:23], s[22:23], exec
	s_or_b64 exec, exec, s[58:59]
	s_and_saveexec_b64 s[0:1], s[56:57]
	s_xor_b64 s[56:57], exec, s[0:1]
	s_cbranch_execnz .LBB7_345
	s_branch .LBB7_346
.LBB7_738:
	s_cbranch_execz .LBB7_765
; %bb.739:
	v_readfirstlane_b32 s0, v32
	s_waitcnt vmcnt(0)
	v_mov_b64_e32 v[8:9], 0
	v_cmp_eq_u32_e64 s[0:1], s0, v32
	s_and_saveexec_b64 s[4:5], s[0:1]
	s_cbranch_execz .LBB7_745
; %bb.740:
	v_mov_b32_e32 v2, 0
	global_load_dwordx2 v[6:7], v2, s[2:3] offset:24 sc0 sc1
	s_waitcnt vmcnt(0)
	buffer_inv sc0 sc1
	global_load_dwordx2 v[4:5], v2, s[2:3] offset:40
	global_load_dwordx2 v[8:9], v2, s[2:3]
	s_waitcnt vmcnt(1)
	v_and_b32_e32 v3, v4, v6
	v_and_b32_e32 v4, v5, v7
	v_mul_lo_u32 v4, v4, 24
	v_mul_hi_u32 v5, v3, 24
	v_add_u32_e32 v5, v5, v4
	v_mul_lo_u32 v4, v3, 24
	s_waitcnt vmcnt(0)
	v_lshl_add_u64 v[4:5], v[8:9], 0, v[4:5]
	global_load_dwordx2 v[4:5], v[4:5], off sc0 sc1
	s_waitcnt vmcnt(0)
	global_atomic_cmpswap_x2 v[8:9], v2, v[4:7], s[2:3] offset:24 sc0 sc1
	s_waitcnt vmcnt(0)
	buffer_inv sc0 sc1
	v_cmp_ne_u64_e32 vcc, v[8:9], v[6:7]
	s_and_saveexec_b64 s[6:7], vcc
	s_cbranch_execz .LBB7_744
; %bb.741:
	s_mov_b64 s[8:9], 0
.LBB7_742:                              ; =>This Inner Loop Header: Depth=1
	s_sleep 1
	global_load_dwordx2 v[4:5], v2, s[2:3] offset:40
	global_load_dwordx2 v[10:11], v2, s[2:3]
	v_mov_b64_e32 v[6:7], v[8:9]
	s_waitcnt vmcnt(1)
	v_and_b32_e32 v4, v4, v6
	v_and_b32_e32 v3, v5, v7
	s_waitcnt vmcnt(0)
	v_mad_u64_u32 v[4:5], s[10:11], v4, 24, v[10:11]
	v_mov_b32_e32 v8, v5
	v_mad_u64_u32 v[8:9], s[10:11], v3, 24, v[8:9]
	v_mov_b32_e32 v5, v8
	global_load_dwordx2 v[4:5], v[4:5], off sc0 sc1
	s_waitcnt vmcnt(0)
	global_atomic_cmpswap_x2 v[8:9], v2, v[4:7], s[2:3] offset:24 sc0 sc1
	s_waitcnt vmcnt(0)
	buffer_inv sc0 sc1
	v_cmp_eq_u64_e32 vcc, v[8:9], v[6:7]
	s_or_b64 s[8:9], vcc, s[8:9]
	s_andn2_b64 exec, exec, s[8:9]
	s_cbranch_execnz .LBB7_742
; %bb.743:
	s_or_b64 exec, exec, s[8:9]
.LBB7_744:
	s_or_b64 exec, exec, s[6:7]
.LBB7_745:
	s_or_b64 exec, exec, s[4:5]
	v_mov_b32_e32 v2, 0
	global_load_dwordx2 v[10:11], v2, s[2:3] offset:40
	global_load_dwordx4 v[4:7], v2, s[2:3]
	v_readfirstlane_b32 s5, v9
	v_readfirstlane_b32 s4, v8
	s_mov_b64 s[6:7], exec
	s_waitcnt vmcnt(1)
	v_readfirstlane_b32 s8, v10
	v_readfirstlane_b32 s9, v11
	s_and_b64 s[8:9], s[8:9], s[4:5]
	s_mul_i32 s10, s9, 24
	s_mul_hi_u32 s11, s8, 24
	s_add_i32 s11, s11, s10
	s_mul_i32 s10, s8, 24
	s_waitcnt vmcnt(0)
	v_lshl_add_u64 v[8:9], v[4:5], 0, s[10:11]
	s_and_saveexec_b64 s[10:11], s[0:1]
	s_cbranch_execz .LBB7_747
; %bb.746:
	v_mov_b64_e32 v[10:11], s[6:7]
	v_mov_b32_e32 v12, 2
	v_mov_b32_e32 v13, 1
	global_store_dwordx4 v[8:9], v[10:13], off offset:8
.LBB7_747:
	s_or_b64 exec, exec, s[10:11]
	s_lshl_b64 s[6:7], s[8:9], 12
	v_lshl_add_u64 v[6:7], v[6:7], 0, s[6:7]
	s_movk_i32 s6, 0xff1d
	s_mov_b32 s8, 0
	v_and_or_b32 v0, v0, s6, 34
	v_mov_b32_e32 v3, v2
	v_readfirstlane_b32 s6, v6
	v_readfirstlane_b32 s7, v7
	s_mov_b32 s9, s8
	s_mov_b32 s10, s8
	;; [unrolled: 1-line block ×3, first 2 shown]
	s_nop 1
	global_store_dwordx4 v26, v[0:3], s[6:7]
	s_nop 1
	v_mov_b64_e32 v[0:1], s[8:9]
	v_mov_b64_e32 v[2:3], s[10:11]
	global_store_dwordx4 v26, v[0:3], s[6:7] offset:16
	global_store_dwordx4 v26, v[0:3], s[6:7] offset:32
	;; [unrolled: 1-line block ×3, first 2 shown]
	s_and_saveexec_b64 s[6:7], s[0:1]
	s_cbranch_execz .LBB7_755
; %bb.748:
	v_mov_b32_e32 v6, 0
	global_load_dwordx2 v[12:13], v6, s[2:3] offset:32 sc0 sc1
	global_load_dwordx2 v[0:1], v6, s[2:3] offset:40
	v_mov_b32_e32 v10, s4
	v_mov_b32_e32 v11, s5
	s_waitcnt vmcnt(0)
	v_readfirstlane_b32 s8, v0
	v_readfirstlane_b32 s9, v1
	s_and_b64 s[8:9], s[8:9], s[4:5]
	s_mul_i32 s9, s9, 24
	s_mul_hi_u32 s10, s8, 24
	s_mul_i32 s8, s8, 24
	s_add_i32 s9, s10, s9
	v_lshl_add_u64 v[4:5], v[4:5], 0, s[8:9]
	global_store_dwordx2 v[4:5], v[12:13], off
	buffer_wbl2 sc0 sc1
	s_waitcnt vmcnt(0)
	global_atomic_cmpswap_x2 v[2:3], v6, v[10:13], s[2:3] offset:32 sc0 sc1
	s_waitcnt vmcnt(0)
	v_cmp_ne_u64_e32 vcc, v[2:3], v[12:13]
	s_and_saveexec_b64 s[8:9], vcc
	s_cbranch_execz .LBB7_751
; %bb.749:
	s_mov_b64 s[10:11], 0
.LBB7_750:                              ; =>This Inner Loop Header: Depth=1
	s_sleep 1
	global_store_dwordx2 v[4:5], v[2:3], off
	v_mov_b32_e32 v0, s4
	v_mov_b32_e32 v1, s5
	buffer_wbl2 sc0 sc1
	s_waitcnt vmcnt(0)
	global_atomic_cmpswap_x2 v[0:1], v6, v[0:3], s[2:3] offset:32 sc0 sc1
	s_waitcnt vmcnt(0)
	v_cmp_eq_u64_e32 vcc, v[0:1], v[2:3]
	s_or_b64 s[10:11], vcc, s[10:11]
	v_mov_b64_e32 v[2:3], v[0:1]
	s_andn2_b64 exec, exec, s[10:11]
	s_cbranch_execnz .LBB7_750
.LBB7_751:
	s_or_b64 exec, exec, s[8:9]
	v_mov_b32_e32 v3, 0
	global_load_dwordx2 v[0:1], v3, s[2:3] offset:16
	s_mov_b64 s[8:9], exec
	v_mbcnt_lo_u32_b32 v2, s8, 0
	v_mbcnt_hi_u32_b32 v2, s9, v2
	v_cmp_eq_u32_e32 vcc, 0, v2
	s_and_saveexec_b64 s[10:11], vcc
	s_cbranch_execz .LBB7_753
; %bb.752:
	s_bcnt1_i32_b64 s8, s[8:9]
	v_mov_b32_e32 v2, s8
	buffer_wbl2 sc0 sc1
	s_waitcnt vmcnt(0)
	global_atomic_add_x2 v[0:1], v[2:3], off offset:8 sc1
.LBB7_753:
	s_or_b64 exec, exec, s[10:11]
	s_waitcnt vmcnt(0)
	global_load_dwordx2 v[2:3], v[0:1], off offset:16
	s_waitcnt vmcnt(0)
	v_cmp_eq_u64_e32 vcc, 0, v[2:3]
	s_cbranch_vccnz .LBB7_755
; %bb.754:
	global_load_dword v0, v[0:1], off offset:24
	v_mov_b32_e32 v1, 0
	s_waitcnt vmcnt(0)
	v_readfirstlane_b32 s8, v0
	s_and_b32 m0, s8, 0xffffff
	buffer_wbl2 sc0 sc1
	global_store_dwordx2 v[2:3], v[0:1], off sc0 sc1
	s_sendmsg sendmsg(MSG_INTERRUPT)
.LBB7_755:
	s_or_b64 exec, exec, s[6:7]
	s_branch .LBB7_759
.LBB7_756:                              ;   in Loop: Header=BB7_759 Depth=1
	s_or_b64 exec, exec, s[6:7]
	v_readfirstlane_b32 s6, v0
	s_cmp_eq_u32 s6, 0
	s_cbranch_scc1 .LBB7_758
; %bb.757:                              ;   in Loop: Header=BB7_759 Depth=1
	s_sleep 1
	s_cbranch_execnz .LBB7_759
	s_branch .LBB7_761
.LBB7_758:
	s_branch .LBB7_761
.LBB7_759:                              ; =>This Inner Loop Header: Depth=1
	v_mov_b32_e32 v0, 1
	s_and_saveexec_b64 s[6:7], s[0:1]
	s_cbranch_execz .LBB7_756
; %bb.760:                              ;   in Loop: Header=BB7_759 Depth=1
	global_load_dword v0, v[8:9], off offset:20 sc0 sc1
	s_waitcnt vmcnt(0)
	buffer_inv sc0 sc1
	v_and_b32_e32 v0, 1, v0
	s_branch .LBB7_756
.LBB7_761:
	s_and_saveexec_b64 s[6:7], s[0:1]
	s_cbranch_execz .LBB7_764
; %bb.762:
	v_mov_b32_e32 v6, 0
	global_load_dwordx2 v[0:1], v6, s[2:3] offset:40
	global_load_dwordx2 v[10:11], v6, s[2:3] offset:24 sc0 sc1
	global_load_dwordx2 v[2:3], v6, s[2:3]
	s_waitcnt vmcnt(2)
	v_readfirstlane_b32 s8, v0
	v_readfirstlane_b32 s9, v1
	s_add_u32 s10, s8, 1
	s_addc_u32 s11, s9, 0
	s_add_u32 s0, s10, s4
	s_addc_u32 s1, s11, s5
	s_cmp_eq_u64 s[0:1], 0
	s_cselect_b32 s1, s11, s1
	s_cselect_b32 s0, s10, s0
	s_and_b64 s[4:5], s[0:1], s[8:9]
	s_mul_i32 s5, s5, 24
	s_mul_hi_u32 s8, s4, 24
	s_mul_i32 s4, s4, 24
	s_add_i32 s5, s8, s5
	s_waitcnt vmcnt(0)
	v_lshl_add_u64 v[4:5], v[2:3], 0, s[4:5]
	v_mov_b32_e32 v8, s0
	global_store_dwordx2 v[4:5], v[10:11], off
	v_mov_b32_e32 v9, s1
	buffer_wbl2 sc0 sc1
	s_waitcnt vmcnt(0)
	global_atomic_cmpswap_x2 v[2:3], v6, v[8:11], s[2:3] offset:24 sc0 sc1
	s_mov_b64 s[4:5], 0
	s_waitcnt vmcnt(0)
	v_cmp_ne_u64_e32 vcc, v[2:3], v[10:11]
	s_and_b64 exec, exec, vcc
	s_cbranch_execz .LBB7_764
.LBB7_763:                              ; =>This Inner Loop Header: Depth=1
	s_sleep 1
	global_store_dwordx2 v[4:5], v[2:3], off
	v_mov_b32_e32 v0, s0
	v_mov_b32_e32 v1, s1
	buffer_wbl2 sc0 sc1
	s_waitcnt vmcnt(0)
	global_atomic_cmpswap_x2 v[0:1], v6, v[0:3], s[2:3] offset:24 sc0 sc1
	s_waitcnt vmcnt(0)
	v_cmp_eq_u64_e32 vcc, v[0:1], v[2:3]
	s_or_b64 s[4:5], vcc, s[4:5]
	v_mov_b64_e32 v[2:3], v[0:1]
	s_andn2_b64 exec, exec, s[4:5]
	s_cbranch_execnz .LBB7_763
.LBB7_764:
	s_or_b64 exec, exec, s[6:7]
.LBB7_765:
	s_add_u32 s8, s84, 0x80
	s_addc_u32 s9, s85, 0
	s_getpc_b64 s[0:1]
	s_add_u32 s0, s0, .str.29@rel32@lo+4
	s_addc_u32 s1, s1, .str.29@rel32@hi+12
	s_getpc_b64 s[2:3]
	s_add_u32 s2, s2, .str.19@rel32@lo+4
	s_addc_u32 s3, s3, .str.19@rel32@hi+12
	s_getpc_b64 s[4:5]
	s_add_u32 s4, s4, __PRETTY_FUNCTION__._ZN7VecsMemIjLi8192EE5fetchEi@rel32@lo+4
	s_addc_u32 s5, s5, __PRETTY_FUNCTION__._ZN7VecsMemIjLi8192EE5fetchEi@rel32@hi+12
	s_getpc_b64 s[6:7]
	s_add_u32 s6, s6, __assert_fail@rel32@lo+4
	s_addc_u32 s7, s7, __assert_fail@rel32@hi+12
	s_waitcnt vmcnt(0)
	v_mov_b32_e32 v0, s0
	v_mov_b32_e32 v1, s1
	;; [unrolled: 1-line block ×7, first 2 shown]
	s_swappc_b64 s[30:31], s[6:7]
	s_or_b64 s[22:23], s[22:23], exec
	s_or_b64 exec, exec, s[56:57]
	s_and_saveexec_b64 s[0:1], s[52:53]
	s_xor_b64 s[52:53], exec, s[0:1]
	s_cbranch_execz .LBB7_348
.LBB7_766:
	s_add_u32 s8, s84, 0x80
	s_addc_u32 s9, s85, 0
	s_getpc_b64 s[0:1]
	s_add_u32 s0, s0, .str.18@rel32@lo+4
	s_addc_u32 s1, s1, .str.18@rel32@hi+12
	s_getpc_b64 s[2:3]
	s_add_u32 s2, s2, .str.19@rel32@lo+4
	s_addc_u32 s3, s3, .str.19@rel32@hi+12
	s_getpc_b64 s[4:5]
	s_add_u32 s4, s4, __PRETTY_FUNCTION__._ZN7VecsMemIjLi8192EE6shrinkEi@rel32@lo+4
	s_addc_u32 s5, s5, __PRETTY_FUNCTION__._ZN7VecsMemIjLi8192EE6shrinkEi@rel32@hi+12
	s_getpc_b64 s[6:7]
	s_add_u32 s6, s6, __assert_fail@rel32@lo+4
	s_addc_u32 s7, s7, __assert_fail@rel32@hi+12
	v_mov_b32_e32 v0, s0
	v_mov_b32_e32 v1, s1
	;; [unrolled: 1-line block ×6, first 2 shown]
	s_waitcnt vmcnt(0)
	v_mov_b32_e32 v6, s5
	s_swappc_b64 s[30:31], s[6:7]
	s_or_b64 s[22:23], s[22:23], exec
	s_or_b64 exec, exec, s[52:53]
	s_and_saveexec_b64 s[0:1], s[50:51]
	s_xor_b64 s[50:51], exec, s[0:1]
	s_cbranch_execnz .LBB7_349
	s_branch .LBB7_350
.LBB7_767:
	s_cbranch_execz .LBB7_794
; %bb.768:
	v_readfirstlane_b32 s0, v32
	s_waitcnt vmcnt(0)
	v_mov_b64_e32 v[8:9], 0
	v_cmp_eq_u32_e64 s[0:1], s0, v32
	s_and_saveexec_b64 s[4:5], s[0:1]
	s_cbranch_execz .LBB7_774
; %bb.769:
	v_mov_b32_e32 v2, 0
	global_load_dwordx2 v[6:7], v2, s[2:3] offset:24 sc0 sc1
	s_waitcnt vmcnt(0)
	buffer_inv sc0 sc1
	global_load_dwordx2 v[4:5], v2, s[2:3] offset:40
	global_load_dwordx2 v[8:9], v2, s[2:3]
	s_waitcnt vmcnt(1)
	v_and_b32_e32 v3, v4, v6
	v_and_b32_e32 v4, v5, v7
	v_mul_lo_u32 v4, v4, 24
	v_mul_hi_u32 v5, v3, 24
	v_add_u32_e32 v5, v5, v4
	v_mul_lo_u32 v4, v3, 24
	s_waitcnt vmcnt(0)
	v_lshl_add_u64 v[4:5], v[8:9], 0, v[4:5]
	global_load_dwordx2 v[4:5], v[4:5], off sc0 sc1
	s_waitcnt vmcnt(0)
	global_atomic_cmpswap_x2 v[8:9], v2, v[4:7], s[2:3] offset:24 sc0 sc1
	s_waitcnt vmcnt(0)
	buffer_inv sc0 sc1
	v_cmp_ne_u64_e32 vcc, v[8:9], v[6:7]
	s_and_saveexec_b64 s[6:7], vcc
	s_cbranch_execz .LBB7_773
; %bb.770:
	s_mov_b64 s[8:9], 0
.LBB7_771:                              ; =>This Inner Loop Header: Depth=1
	s_sleep 1
	global_load_dwordx2 v[4:5], v2, s[2:3] offset:40
	global_load_dwordx2 v[10:11], v2, s[2:3]
	v_mov_b64_e32 v[6:7], v[8:9]
	s_waitcnt vmcnt(1)
	v_and_b32_e32 v4, v4, v6
	v_and_b32_e32 v3, v5, v7
	s_waitcnt vmcnt(0)
	v_mad_u64_u32 v[4:5], s[10:11], v4, 24, v[10:11]
	v_mov_b32_e32 v8, v5
	v_mad_u64_u32 v[8:9], s[10:11], v3, 24, v[8:9]
	v_mov_b32_e32 v5, v8
	global_load_dwordx2 v[4:5], v[4:5], off sc0 sc1
	s_waitcnt vmcnt(0)
	global_atomic_cmpswap_x2 v[8:9], v2, v[4:7], s[2:3] offset:24 sc0 sc1
	s_waitcnt vmcnt(0)
	buffer_inv sc0 sc1
	v_cmp_eq_u64_e32 vcc, v[8:9], v[6:7]
	s_or_b64 s[8:9], vcc, s[8:9]
	s_andn2_b64 exec, exec, s[8:9]
	s_cbranch_execnz .LBB7_771
; %bb.772:
	s_or_b64 exec, exec, s[8:9]
.LBB7_773:
	s_or_b64 exec, exec, s[6:7]
.LBB7_774:
	s_or_b64 exec, exec, s[4:5]
	v_mov_b32_e32 v2, 0
	global_load_dwordx2 v[10:11], v2, s[2:3] offset:40
	global_load_dwordx4 v[4:7], v2, s[2:3]
	v_readfirstlane_b32 s5, v9
	v_readfirstlane_b32 s4, v8
	s_mov_b64 s[6:7], exec
	s_waitcnt vmcnt(1)
	v_readfirstlane_b32 s8, v10
	v_readfirstlane_b32 s9, v11
	s_and_b64 s[8:9], s[8:9], s[4:5]
	s_mul_i32 s10, s9, 24
	s_mul_hi_u32 s11, s8, 24
	s_add_i32 s11, s11, s10
	s_mul_i32 s10, s8, 24
	s_waitcnt vmcnt(0)
	v_lshl_add_u64 v[8:9], v[4:5], 0, s[10:11]
	s_and_saveexec_b64 s[10:11], s[0:1]
	s_cbranch_execz .LBB7_776
; %bb.775:
	v_mov_b64_e32 v[10:11], s[6:7]
	v_mov_b32_e32 v12, 2
	v_mov_b32_e32 v13, 1
	global_store_dwordx4 v[8:9], v[10:13], off offset:8
.LBB7_776:
	s_or_b64 exec, exec, s[10:11]
	s_lshl_b64 s[6:7], s[8:9], 12
	v_lshl_add_u64 v[6:7], v[6:7], 0, s[6:7]
	s_movk_i32 s6, 0xff1d
	s_mov_b32 s8, 0
	v_and_or_b32 v0, v0, s6, 34
	v_mov_b32_e32 v3, v2
	v_readfirstlane_b32 s6, v6
	v_readfirstlane_b32 s7, v7
	s_mov_b32 s9, s8
	s_mov_b32 s10, s8
	;; [unrolled: 1-line block ×3, first 2 shown]
	s_nop 1
	global_store_dwordx4 v26, v[0:3], s[6:7]
	s_nop 1
	v_mov_b64_e32 v[0:1], s[8:9]
	v_mov_b64_e32 v[2:3], s[10:11]
	global_store_dwordx4 v26, v[0:3], s[6:7] offset:16
	global_store_dwordx4 v26, v[0:3], s[6:7] offset:32
	;; [unrolled: 1-line block ×3, first 2 shown]
	s_and_saveexec_b64 s[6:7], s[0:1]
	s_cbranch_execz .LBB7_784
; %bb.777:
	v_mov_b32_e32 v6, 0
	global_load_dwordx2 v[12:13], v6, s[2:3] offset:32 sc0 sc1
	global_load_dwordx2 v[0:1], v6, s[2:3] offset:40
	v_mov_b32_e32 v10, s4
	v_mov_b32_e32 v11, s5
	s_waitcnt vmcnt(0)
	v_readfirstlane_b32 s8, v0
	v_readfirstlane_b32 s9, v1
	s_and_b64 s[8:9], s[8:9], s[4:5]
	s_mul_i32 s9, s9, 24
	s_mul_hi_u32 s10, s8, 24
	s_mul_i32 s8, s8, 24
	s_add_i32 s9, s10, s9
	v_lshl_add_u64 v[4:5], v[4:5], 0, s[8:9]
	global_store_dwordx2 v[4:5], v[12:13], off
	buffer_wbl2 sc0 sc1
	s_waitcnt vmcnt(0)
	global_atomic_cmpswap_x2 v[2:3], v6, v[10:13], s[2:3] offset:32 sc0 sc1
	s_waitcnt vmcnt(0)
	v_cmp_ne_u64_e32 vcc, v[2:3], v[12:13]
	s_and_saveexec_b64 s[8:9], vcc
	s_cbranch_execz .LBB7_780
; %bb.778:
	s_mov_b64 s[10:11], 0
.LBB7_779:                              ; =>This Inner Loop Header: Depth=1
	s_sleep 1
	global_store_dwordx2 v[4:5], v[2:3], off
	v_mov_b32_e32 v0, s4
	v_mov_b32_e32 v1, s5
	buffer_wbl2 sc0 sc1
	s_waitcnt vmcnt(0)
	global_atomic_cmpswap_x2 v[0:1], v6, v[0:3], s[2:3] offset:32 sc0 sc1
	s_waitcnt vmcnt(0)
	v_cmp_eq_u64_e32 vcc, v[0:1], v[2:3]
	s_or_b64 s[10:11], vcc, s[10:11]
	v_mov_b64_e32 v[2:3], v[0:1]
	s_andn2_b64 exec, exec, s[10:11]
	s_cbranch_execnz .LBB7_779
.LBB7_780:
	s_or_b64 exec, exec, s[8:9]
	v_mov_b32_e32 v3, 0
	global_load_dwordx2 v[0:1], v3, s[2:3] offset:16
	s_mov_b64 s[8:9], exec
	v_mbcnt_lo_u32_b32 v2, s8, 0
	v_mbcnt_hi_u32_b32 v2, s9, v2
	v_cmp_eq_u32_e32 vcc, 0, v2
	s_and_saveexec_b64 s[10:11], vcc
	s_cbranch_execz .LBB7_782
; %bb.781:
	s_bcnt1_i32_b64 s8, s[8:9]
	v_mov_b32_e32 v2, s8
	buffer_wbl2 sc0 sc1
	s_waitcnt vmcnt(0)
	global_atomic_add_x2 v[0:1], v[2:3], off offset:8 sc1
.LBB7_782:
	s_or_b64 exec, exec, s[10:11]
	s_waitcnt vmcnt(0)
	global_load_dwordx2 v[2:3], v[0:1], off offset:16
	s_waitcnt vmcnt(0)
	v_cmp_eq_u64_e32 vcc, 0, v[2:3]
	s_cbranch_vccnz .LBB7_784
; %bb.783:
	global_load_dword v0, v[0:1], off offset:24
	v_mov_b32_e32 v1, 0
	s_waitcnt vmcnt(0)
	v_readfirstlane_b32 s8, v0
	s_and_b32 m0, s8, 0xffffff
	buffer_wbl2 sc0 sc1
	global_store_dwordx2 v[2:3], v[0:1], off sc0 sc1
	s_sendmsg sendmsg(MSG_INTERRUPT)
.LBB7_784:
	s_or_b64 exec, exec, s[6:7]
	s_branch .LBB7_788
.LBB7_785:                              ;   in Loop: Header=BB7_788 Depth=1
	s_or_b64 exec, exec, s[6:7]
	v_readfirstlane_b32 s6, v0
	s_cmp_eq_u32 s6, 0
	s_cbranch_scc1 .LBB7_787
; %bb.786:                              ;   in Loop: Header=BB7_788 Depth=1
	s_sleep 1
	s_cbranch_execnz .LBB7_788
	s_branch .LBB7_790
.LBB7_787:
	s_branch .LBB7_790
.LBB7_788:                              ; =>This Inner Loop Header: Depth=1
	v_mov_b32_e32 v0, 1
	s_and_saveexec_b64 s[6:7], s[0:1]
	s_cbranch_execz .LBB7_785
; %bb.789:                              ;   in Loop: Header=BB7_788 Depth=1
	global_load_dword v0, v[8:9], off offset:20 sc0 sc1
	s_waitcnt vmcnt(0)
	buffer_inv sc0 sc1
	v_and_b32_e32 v0, 1, v0
	s_branch .LBB7_785
.LBB7_790:
	s_and_saveexec_b64 s[6:7], s[0:1]
	s_cbranch_execz .LBB7_793
; %bb.791:
	v_mov_b32_e32 v6, 0
	global_load_dwordx2 v[0:1], v6, s[2:3] offset:40
	global_load_dwordx2 v[10:11], v6, s[2:3] offset:24 sc0 sc1
	global_load_dwordx2 v[2:3], v6, s[2:3]
	s_waitcnt vmcnt(2)
	v_readfirstlane_b32 s8, v0
	v_readfirstlane_b32 s9, v1
	s_add_u32 s10, s8, 1
	s_addc_u32 s11, s9, 0
	s_add_u32 s0, s10, s4
	s_addc_u32 s1, s11, s5
	s_cmp_eq_u64 s[0:1], 0
	s_cselect_b32 s1, s11, s1
	s_cselect_b32 s0, s10, s0
	s_and_b64 s[4:5], s[0:1], s[8:9]
	s_mul_i32 s5, s5, 24
	s_mul_hi_u32 s8, s4, 24
	s_mul_i32 s4, s4, 24
	s_add_i32 s5, s8, s5
	s_waitcnt vmcnt(0)
	v_lshl_add_u64 v[4:5], v[2:3], 0, s[4:5]
	v_mov_b32_e32 v8, s0
	global_store_dwordx2 v[4:5], v[10:11], off
	v_mov_b32_e32 v9, s1
	buffer_wbl2 sc0 sc1
	s_waitcnt vmcnt(0)
	global_atomic_cmpswap_x2 v[2:3], v6, v[8:11], s[2:3] offset:24 sc0 sc1
	s_mov_b64 s[4:5], 0
	s_waitcnt vmcnt(0)
	v_cmp_ne_u64_e32 vcc, v[2:3], v[10:11]
	s_and_b64 exec, exec, vcc
	s_cbranch_execz .LBB7_793
.LBB7_792:                              ; =>This Inner Loop Header: Depth=1
	s_sleep 1
	global_store_dwordx2 v[4:5], v[2:3], off
	v_mov_b32_e32 v0, s0
	v_mov_b32_e32 v1, s1
	buffer_wbl2 sc0 sc1
	s_waitcnt vmcnt(0)
	global_atomic_cmpswap_x2 v[0:1], v6, v[0:3], s[2:3] offset:24 sc0 sc1
	s_waitcnt vmcnt(0)
	v_cmp_eq_u64_e32 vcc, v[0:1], v[2:3]
	s_or_b64 s[4:5], vcc, s[4:5]
	v_mov_b64_e32 v[2:3], v[0:1]
	s_andn2_b64 exec, exec, s[4:5]
	s_cbranch_execnz .LBB7_792
.LBB7_793:
	s_or_b64 exec, exec, s[6:7]
.LBB7_794:
	s_add_u32 s8, s84, 0x80
	s_addc_u32 s9, s85, 0
	s_getpc_b64 s[0:1]
	s_add_u32 s0, s0, .str.29@rel32@lo+4
	s_addc_u32 s1, s1, .str.29@rel32@hi+12
	s_getpc_b64 s[2:3]
	s_add_u32 s2, s2, .str.19@rel32@lo+4
	s_addc_u32 s3, s3, .str.19@rel32@hi+12
	s_getpc_b64 s[4:5]
	s_add_u32 s4, s4, __PRETTY_FUNCTION__._ZN7VecsMemIjLi8192EE5fetchEi@rel32@lo+4
	s_addc_u32 s5, s5, __PRETTY_FUNCTION__._ZN7VecsMemIjLi8192EE5fetchEi@rel32@hi+12
	s_getpc_b64 s[6:7]
	s_add_u32 s6, s6, __assert_fail@rel32@lo+4
	s_addc_u32 s7, s7, __assert_fail@rel32@hi+12
	s_waitcnt vmcnt(0)
	v_mov_b32_e32 v0, s0
	v_mov_b32_e32 v1, s1
	;; [unrolled: 1-line block ×7, first 2 shown]
	s_swappc_b64 s[30:31], s[6:7]
	s_or_b64 s[22:23], s[22:23], exec
	s_or_b64 exec, exec, s[44:45]
	s_and_saveexec_b64 s[0:1], s[40:41]
	s_xor_b64 s[40:41], exec, s[0:1]
	s_cbranch_execz .LBB7_358
.LBB7_795:
	s_add_u32 s8, s84, 0x80
	s_addc_u32 s9, s85, 0
	s_getpc_b64 s[0:1]
	s_add_u32 s0, s0, .str.30@rel32@lo+4
	s_addc_u32 s1, s1, .str.30@rel32@hi+12
	s_getpc_b64 s[2:3]
	s_add_u32 s2, s2, .str.31@rel32@lo+4
	s_addc_u32 s3, s3, .str.31@rel32@hi+12
	s_getpc_b64 s[4:5]
	s_add_u32 s4, s4, __PRETTY_FUNCTION__._ZN3sop9sopFactorEPjiiPKiiP7VecsMemIjLi8192EEPN8subgUtil4SubgILi256EEE@rel32@lo+4
	s_addc_u32 s5, s5, __PRETTY_FUNCTION__._ZN3sop9sopFactorEPjiiPKiiP7VecsMemIjLi8192EEPN8subgUtil4SubgILi256EEE@rel32@hi+12
	s_getpc_b64 s[6:7]
	s_add_u32 s6, s6, __assert_fail@rel32@lo+4
	s_addc_u32 s7, s7, __assert_fail@rel32@hi+12
	v_mov_b32_e32 v0, s0
	v_mov_b32_e32 v1, s1
	;; [unrolled: 1-line block ×6, first 2 shown]
	s_waitcnt vmcnt(0)
	v_mov_b32_e32 v6, s5
	s_swappc_b64 s[30:31], s[6:7]
	s_or_b64 s[22:23], s[22:23], exec
	s_or_b64 exec, exec, s[40:41]
	s_and_saveexec_b64 s[40:41], s[38:39]
	s_cbranch_execz .LBB7_359
.LBB7_796:
	s_add_u32 s8, s84, 0x80
	s_addc_u32 s9, s85, 0
	s_getpc_b64 s[0:1]
	s_add_u32 s0, s0, .str.18@rel32@lo+4
	s_addc_u32 s1, s1, .str.18@rel32@hi+12
	s_getpc_b64 s[2:3]
	s_add_u32 s2, s2, .str.19@rel32@lo+4
	s_addc_u32 s3, s3, .str.19@rel32@hi+12
	s_getpc_b64 s[4:5]
	s_add_u32 s4, s4, __PRETTY_FUNCTION__._ZN7VecsMemIjLi8192EE6shrinkEi@rel32@lo+4
	s_addc_u32 s5, s5, __PRETTY_FUNCTION__._ZN7VecsMemIjLi8192EE6shrinkEi@rel32@hi+12
	s_getpc_b64 s[6:7]
	s_add_u32 s6, s6, __assert_fail@rel32@lo+4
	s_addc_u32 s7, s7, __assert_fail@rel32@hi+12
	v_mov_b32_e32 v0, s0
	v_mov_b32_e32 v1, s1
	v_mov_b32_e32 v2, s2
	v_mov_b32_e32 v3, s3
	v_mov_b32_e32 v4, 20
	v_mov_b32_e32 v5, s4
	s_waitcnt vmcnt(0)
	v_mov_b32_e32 v6, s5
	s_swappc_b64 s[30:31], s[6:7]
	s_or_b64 s[22:23], s[22:23], exec
	s_or_b64 exec, exec, s[40:41]
	s_and_saveexec_b64 s[0:1], s[36:37]
	s_xor_b64 s[36:37], exec, s[0:1]
	s_cbranch_execz .LBB7_360
.LBB7_797:
	s_add_u32 s8, s84, 0x80
	s_addc_u32 s9, s85, 0
	s_getpc_b64 s[0:1]
	s_add_u32 s0, s0, .str.18@rel32@lo+4
	s_addc_u32 s1, s1, .str.18@rel32@hi+12
	s_getpc_b64 s[2:3]
	s_add_u32 s2, s2, .str.19@rel32@lo+4
	s_addc_u32 s3, s3, .str.19@rel32@hi+12
	s_getpc_b64 s[4:5]
	s_add_u32 s4, s4, __PRETTY_FUNCTION__._ZN7VecsMemIjLi8192EE6shrinkEi@rel32@lo+4
	s_addc_u32 s5, s5, __PRETTY_FUNCTION__._ZN7VecsMemIjLi8192EE6shrinkEi@rel32@hi+12
	s_getpc_b64 s[6:7]
	s_add_u32 s6, s6, __assert_fail@rel32@lo+4
	s_addc_u32 s7, s7, __assert_fail@rel32@hi+12
	v_mov_b32_e32 v0, s0
	v_mov_b32_e32 v1, s1
	;; [unrolled: 1-line block ×6, first 2 shown]
	s_waitcnt vmcnt(0)
	v_mov_b32_e32 v6, s5
	s_swappc_b64 s[30:31], s[6:7]
	s_or_b64 s[22:23], s[22:23], exec
	s_or_b64 exec, exec, s[36:37]
	s_and_saveexec_b64 s[0:1], s[34:35]
	s_xor_b64 s[34:35], exec, s[0:1]
	s_cbranch_execz .LBB7_361
.LBB7_798:
	s_add_u32 s8, s84, 0x80
	s_addc_u32 s9, s85, 0
	s_getpc_b64 s[0:1]
	s_add_u32 s0, s0, .str.17@rel32@lo+4
	s_addc_u32 s1, s1, .str.17@rel32@hi+12
	s_getpc_b64 s[2:3]
	s_add_u32 s2, s2, .str.16@rel32@lo+4
	s_addc_u32 s3, s3, .str.16@rel32@hi+12
	s_getpc_b64 s[4:5]
	s_add_u32 s4, s4, __PRETTY_FUNCTION__._ZN3sop10minatoIsopEPKjiP7VecsMemIjLi8192EE@rel32@lo+4
	s_addc_u32 s5, s5, __PRETTY_FUNCTION__._ZN3sop10minatoIsopEPKjiP7VecsMemIjLi8192EE@rel32@hi+12
	s_getpc_b64 s[6:7]
	s_add_u32 s6, s6, __assert_fail@rel32@lo+4
	s_addc_u32 s7, s7, __assert_fail@rel32@hi+12
	v_mov_b32_e32 v0, s0
	v_mov_b32_e32 v1, s1
	;; [unrolled: 1-line block ×6, first 2 shown]
	s_waitcnt vmcnt(0)
	v_mov_b32_e32 v6, s5
	s_swappc_b64 s[30:31], s[6:7]
	s_or_b64 s[22:23], s[22:23], exec
	s_or_b64 exec, exec, s[34:35]
	s_and_saveexec_b64 s[34:35], s[28:29]
	s_cbranch_execz .LBB7_362
.LBB7_799:
	v_readlane_b32 s0, v79, 0
	v_readlane_b32 s1, v79, 1
	s_load_dwordx2 s[2:3], s[0:1], 0x50
	v_mbcnt_lo_u32_b32 v0, -1, 0
	v_mbcnt_hi_u32_b32 v32, -1, v0
	v_mov_b64_e32 v[4:5], 0
	v_readfirstlane_b32 s0, v32
	s_nop 1
	v_cmp_eq_u32_e64 s[0:1], s0, v32
	s_and_saveexec_b64 s[4:5], s[0:1]
	s_cbranch_execz .LBB7_805
; %bb.800:
	v_mov_b32_e32 v0, 0
	s_waitcnt lgkmcnt(0)
	global_load_dwordx2 v[6:7], v0, s[2:3] offset:24 sc0 sc1
	s_waitcnt vmcnt(0)
	buffer_inv sc0 sc1
	global_load_dwordx2 v[2:3], v0, s[2:3] offset:40
	global_load_dwordx2 v[4:5], v0, s[2:3]
	s_waitcnt vmcnt(1)
	v_and_b32_e32 v1, v2, v6
	v_and_b32_e32 v2, v3, v7
	v_mul_lo_u32 v2, v2, 24
	v_mul_hi_u32 v3, v1, 24
	v_add_u32_e32 v3, v3, v2
	v_mul_lo_u32 v2, v1, 24
	s_waitcnt vmcnt(0)
	v_lshl_add_u64 v[2:3], v[4:5], 0, v[2:3]
	global_load_dwordx2 v[4:5], v[2:3], off sc0 sc1
	s_waitcnt vmcnt(0)
	global_atomic_cmpswap_x2 v[4:5], v0, v[4:7], s[2:3] offset:24 sc0 sc1
	s_waitcnt vmcnt(0)
	buffer_inv sc0 sc1
	v_cmp_ne_u64_e32 vcc, v[4:5], v[6:7]
	s_and_saveexec_b64 s[6:7], vcc
	s_cbranch_execz .LBB7_804
; %bb.801:
	s_mov_b64 s[8:9], 0
.LBB7_802:                              ; =>This Inner Loop Header: Depth=1
	s_sleep 1
	global_load_dwordx2 v[2:3], v0, s[2:3] offset:40
	global_load_dwordx2 v[8:9], v0, s[2:3]
	v_mov_b64_e32 v[6:7], v[4:5]
	s_waitcnt vmcnt(1)
	v_and_b32_e32 v2, v2, v6
	v_and_b32_e32 v1, v3, v7
	s_waitcnt vmcnt(0)
	v_mad_u64_u32 v[2:3], s[10:11], v2, 24, v[8:9]
	v_mov_b32_e32 v4, v3
	v_mad_u64_u32 v[4:5], s[10:11], v1, 24, v[4:5]
	v_mov_b32_e32 v3, v4
	global_load_dwordx2 v[4:5], v[2:3], off sc0 sc1
	s_waitcnt vmcnt(0)
	global_atomic_cmpswap_x2 v[4:5], v0, v[4:7], s[2:3] offset:24 sc0 sc1
	s_waitcnt vmcnt(0)
	buffer_inv sc0 sc1
	v_cmp_eq_u64_e32 vcc, v[4:5], v[6:7]
	s_or_b64 s[8:9], vcc, s[8:9]
	s_andn2_b64 exec, exec, s[8:9]
	s_cbranch_execnz .LBB7_802
; %bb.803:
	s_or_b64 exec, exec, s[8:9]
.LBB7_804:
	s_or_b64 exec, exec, s[6:7]
.LBB7_805:
	s_or_b64 exec, exec, s[4:5]
	v_mov_b32_e32 v27, 0
	s_waitcnt lgkmcnt(0)
	global_load_dwordx2 v[6:7], v27, s[2:3] offset:40
	global_load_dwordx4 v[0:3], v27, s[2:3]
	v_readfirstlane_b32 s5, v5
	v_readfirstlane_b32 s4, v4
	s_mov_b64 s[6:7], exec
	s_waitcnt vmcnt(1)
	v_readfirstlane_b32 s8, v6
	v_readfirstlane_b32 s9, v7
	s_and_b64 s[8:9], s[8:9], s[4:5]
	s_mul_i32 s10, s9, 24
	s_mul_hi_u32 s11, s8, 24
	s_add_i32 s11, s11, s10
	s_mul_i32 s10, s8, 24
	s_waitcnt vmcnt(0)
	v_lshl_add_u64 v[4:5], v[0:1], 0, s[10:11]
	s_and_saveexec_b64 s[10:11], s[0:1]
	s_cbranch_execz .LBB7_807
; %bb.806:
	v_mov_b64_e32 v[6:7], s[6:7]
	v_mov_b32_e32 v8, 2
	v_mov_b32_e32 v9, 1
	global_store_dwordx4 v[4:5], v[6:9], off offset:8
.LBB7_807:
	s_or_b64 exec, exec, s[10:11]
	s_lshl_b64 s[6:7], s[8:9], 12
	v_lshl_add_u64 v[6:7], v[2:3], 0, s[6:7]
	s_mov_b32 s8, 0
	v_lshlrev_b32_e32 v26, 6, v32
	v_mov_b32_e32 v8, 33
	v_mov_b32_e32 v9, v27
	;; [unrolled: 1-line block ×4, first 2 shown]
	v_readfirstlane_b32 s6, v6
	v_readfirstlane_b32 s7, v7
	s_mov_b32 s9, s8
	s_mov_b32 s10, s8
	;; [unrolled: 1-line block ×3, first 2 shown]
	s_nop 1
	global_store_dwordx4 v26, v[8:11], s[6:7]
	s_nop 1
	v_mov_b64_e32 v[8:9], s[8:9]
	v_mov_b64_e32 v[10:11], s[10:11]
	global_store_dwordx4 v26, v[8:11], s[6:7] offset:16
	global_store_dwordx4 v26, v[8:11], s[6:7] offset:32
	;; [unrolled: 1-line block ×3, first 2 shown]
	s_and_saveexec_b64 s[6:7], s[0:1]
	s_cbranch_execz .LBB7_815
; %bb.808:
	v_mov_b32_e32 v10, 0
	global_load_dwordx2 v[14:15], v10, s[2:3] offset:32 sc0 sc1
	global_load_dwordx2 v[2:3], v10, s[2:3] offset:40
	v_mov_b32_e32 v12, s4
	v_mov_b32_e32 v13, s5
	s_waitcnt vmcnt(0)
	v_and_b32_e32 v2, s4, v2
	v_and_b32_e32 v3, s5, v3
	v_mul_lo_u32 v3, v3, 24
	v_mul_hi_u32 v8, v2, 24
	v_mul_lo_u32 v2, v2, 24
	v_add_u32_e32 v3, v8, v3
	v_lshl_add_u64 v[8:9], v[0:1], 0, v[2:3]
	global_store_dwordx2 v[8:9], v[14:15], off
	buffer_wbl2 sc0 sc1
	s_waitcnt vmcnt(0)
	global_atomic_cmpswap_x2 v[2:3], v10, v[12:15], s[2:3] offset:32 sc0 sc1
	s_waitcnt vmcnt(0)
	v_cmp_ne_u64_e32 vcc, v[2:3], v[14:15]
	s_and_saveexec_b64 s[8:9], vcc
	s_cbranch_execz .LBB7_811
; %bb.809:
	s_mov_b64 s[10:11], 0
.LBB7_810:                              ; =>This Inner Loop Header: Depth=1
	s_sleep 1
	global_store_dwordx2 v[8:9], v[2:3], off
	v_mov_b32_e32 v0, s4
	v_mov_b32_e32 v1, s5
	buffer_wbl2 sc0 sc1
	s_waitcnt vmcnt(0)
	global_atomic_cmpswap_x2 v[0:1], v10, v[0:3], s[2:3] offset:32 sc0 sc1
	s_waitcnt vmcnt(0)
	v_cmp_eq_u64_e32 vcc, v[0:1], v[2:3]
	s_or_b64 s[10:11], vcc, s[10:11]
	v_mov_b64_e32 v[2:3], v[0:1]
	s_andn2_b64 exec, exec, s[10:11]
	s_cbranch_execnz .LBB7_810
.LBB7_811:
	s_or_b64 exec, exec, s[8:9]
	v_mov_b32_e32 v3, 0
	global_load_dwordx2 v[0:1], v3, s[2:3] offset:16
	s_mov_b64 s[8:9], exec
	v_mbcnt_lo_u32_b32 v2, s8, 0
	v_mbcnt_hi_u32_b32 v2, s9, v2
	v_cmp_eq_u32_e32 vcc, 0, v2
	s_and_saveexec_b64 s[10:11], vcc
	s_cbranch_execz .LBB7_813
; %bb.812:
	s_bcnt1_i32_b64 s8, s[8:9]
	v_mov_b32_e32 v2, s8
	buffer_wbl2 sc0 sc1
	s_waitcnt vmcnt(0)
	global_atomic_add_x2 v[0:1], v[2:3], off offset:8 sc1
.LBB7_813:
	s_or_b64 exec, exec, s[10:11]
	s_waitcnt vmcnt(0)
	global_load_dwordx2 v[2:3], v[0:1], off offset:16
	s_waitcnt vmcnt(0)
	v_cmp_eq_u64_e32 vcc, 0, v[2:3]
	s_cbranch_vccnz .LBB7_815
; %bb.814:
	global_load_dword v0, v[0:1], off offset:24
	v_mov_b32_e32 v1, 0
	s_waitcnt vmcnt(0)
	v_readfirstlane_b32 s8, v0
	s_and_b32 m0, s8, 0xffffff
	buffer_wbl2 sc0 sc1
	global_store_dwordx2 v[2:3], v[0:1], off sc0 sc1
	s_sendmsg sendmsg(MSG_INTERRUPT)
.LBB7_815:
	s_or_b64 exec, exec, s[6:7]
	v_lshl_add_u64 v[0:1], v[6:7], 0, v[26:27]
	s_branch .LBB7_819
.LBB7_816:                              ;   in Loop: Header=BB7_819 Depth=1
	s_or_b64 exec, exec, s[6:7]
	v_readfirstlane_b32 s6, v2
	s_cmp_eq_u32 s6, 0
	s_cbranch_scc1 .LBB7_818
; %bb.817:                              ;   in Loop: Header=BB7_819 Depth=1
	s_sleep 1
	s_cbranch_execnz .LBB7_819
	s_branch .LBB7_821
.LBB7_818:
	s_branch .LBB7_821
.LBB7_819:                              ; =>This Inner Loop Header: Depth=1
	v_mov_b32_e32 v2, 1
	s_and_saveexec_b64 s[6:7], s[0:1]
	s_cbranch_execz .LBB7_816
; %bb.820:                              ;   in Loop: Header=BB7_819 Depth=1
	global_load_dword v2, v[4:5], off offset:20 sc0 sc1
	s_waitcnt vmcnt(0)
	buffer_inv sc0 sc1
	v_and_b32_e32 v2, 1, v2
	s_branch .LBB7_816
.LBB7_821:
	global_load_dwordx2 v[0:1], v[0:1], off
	s_and_saveexec_b64 s[6:7], s[0:1]
	s_cbranch_execz .LBB7_824
; %bb.822:
	v_mov_b32_e32 v8, 0
	global_load_dwordx2 v[2:3], v8, s[2:3] offset:40
	global_load_dwordx2 v[12:13], v8, s[2:3] offset:24 sc0 sc1
	global_load_dwordx2 v[4:5], v8, s[2:3]
	s_waitcnt vmcnt(2)
	v_readfirstlane_b32 s8, v2
	v_readfirstlane_b32 s9, v3
	s_add_u32 s10, s8, 1
	s_addc_u32 s11, s9, 0
	s_add_u32 s0, s10, s4
	s_addc_u32 s1, s11, s5
	s_cmp_eq_u64 s[0:1], 0
	s_cselect_b32 s1, s11, s1
	s_cselect_b32 s0, s10, s0
	s_and_b64 s[4:5], s[0:1], s[8:9]
	s_mul_i32 s5, s5, 24
	s_mul_hi_u32 s8, s4, 24
	s_mul_i32 s4, s4, 24
	s_add_i32 s5, s8, s5
	s_waitcnt vmcnt(0)
	v_lshl_add_u64 v[6:7], v[4:5], 0, s[4:5]
	v_mov_b32_e32 v10, s0
	global_store_dwordx2 v[6:7], v[12:13], off
	v_mov_b32_e32 v11, s1
	buffer_wbl2 sc0 sc1
	s_waitcnt vmcnt(0)
	global_atomic_cmpswap_x2 v[4:5], v8, v[10:13], s[2:3] offset:24 sc0 sc1
	s_mov_b64 s[4:5], 0
	s_waitcnt vmcnt(0)
	v_cmp_ne_u64_e32 vcc, v[4:5], v[12:13]
	s_and_b64 exec, exec, vcc
	s_cbranch_execz .LBB7_824
.LBB7_823:                              ; =>This Inner Loop Header: Depth=1
	s_sleep 1
	global_store_dwordx2 v[6:7], v[4:5], off
	v_mov_b32_e32 v2, s0
	v_mov_b32_e32 v3, s1
	buffer_wbl2 sc0 sc1
	s_waitcnt vmcnt(0)
	global_atomic_cmpswap_x2 v[2:3], v8, v[2:5], s[2:3] offset:24 sc0 sc1
	s_waitcnt vmcnt(0)
	v_cmp_eq_u64_e32 vcc, v[2:3], v[4:5]
	s_or_b64 s[4:5], vcc, s[4:5]
	v_mov_b64_e32 v[4:5], v[2:3]
	s_andn2_b64 exec, exec, s[4:5]
	s_cbranch_execnz .LBB7_823
.LBB7_824:
	s_or_b64 exec, exec, s[6:7]
	s_getpc_b64 s[4:5]
	s_add_u32 s4, s4, .str.28@rel32@lo+4
	s_addc_u32 s5, s5, .str.28@rel32@hi+12
	s_cmp_lg_u64 s[4:5], 0
	s_cbranch_scc0 .LBB7_910
; %bb.825:
	s_waitcnt vmcnt(0)
	v_and_b32_e32 v6, -3, v0
	v_mov_b32_e32 v7, v1
	s_mov_b64 s[6:7], 35
	v_mov_b32_e32 v29, 0
	v_mov_b32_e32 v4, 2
	;; [unrolled: 1-line block ×3, first 2 shown]
	s_branch .LBB7_827
.LBB7_826:                              ;   in Loop: Header=BB7_827 Depth=1
	s_or_b64 exec, exec, s[12:13]
	s_sub_u32 s6, s6, s8
	s_subb_u32 s7, s7, s9
	s_add_u32 s4, s4, s8
	s_addc_u32 s5, s5, s9
	s_cmp_lg_u64 s[6:7], 0
	s_cbranch_scc0 .LBB7_909
.LBB7_827:                              ; =>This Loop Header: Depth=1
                                        ;     Child Loop BB7_830 Depth 2
                                        ;     Child Loop BB7_838 Depth 2
	;; [unrolled: 1-line block ×11, first 2 shown]
	v_cmp_lt_u64_e64 s[0:1], s[6:7], 56
	s_and_b64 s[0:1], s[0:1], exec
	s_cselect_b32 s9, s7, 0
	s_cselect_b32 s8, s6, 56
	v_cmp_gt_u64_e64 s[10:11], s[6:7], 7
	s_add_u32 s0, s4, 8
	s_addc_u32 s1, s5, 0
	s_and_b64 vcc, exec, s[10:11]
	s_cbranch_vccnz .LBB7_831
; %bb.828:                              ;   in Loop: Header=BB7_827 Depth=1
	s_cmp_eq_u64 s[6:7], 0
	s_cbranch_scc1 .LBB7_832
; %bb.829:                              ;   in Loop: Header=BB7_827 Depth=1
	s_lshl_b64 s[0:1], s[8:9], 3
	s_mov_b64 s[10:11], 0
	s_waitcnt vmcnt(0)
	v_mov_b64_e32 v[8:9], 0
	s_mov_b64 s[12:13], s[4:5]
.LBB7_830:                              ;   Parent Loop BB7_827 Depth=1
                                        ; =>  This Inner Loop Header: Depth=2
	global_load_ubyte v2, v29, s[12:13]
	s_waitcnt vmcnt(0)
	v_and_b32_e32 v28, 0xffff, v2
	v_lshlrev_b64 v[2:3], s10, v[28:29]
	s_add_u32 s10, s10, 8
	s_addc_u32 s11, s11, 0
	s_add_u32 s12, s12, 1
	s_addc_u32 s13, s13, 0
	v_or_b32_e32 v8, v2, v8
	s_cmp_lg_u32 s0, s10
	v_or_b32_e32 v9, v3, v9
	s_cbranch_scc1 .LBB7_830
	s_branch .LBB7_833
.LBB7_831:                              ;   in Loop: Header=BB7_827 Depth=1
	s_mov_b32 s14, 0
	s_branch .LBB7_834
.LBB7_832:                              ;   in Loop: Header=BB7_827 Depth=1
	s_waitcnt vmcnt(0)
	v_mov_b64_e32 v[8:9], 0
.LBB7_833:                              ;   in Loop: Header=BB7_827 Depth=1
	s_mov_b64 s[0:1], s[4:5]
	s_mov_b32 s14, 0
	s_cbranch_execnz .LBB7_835
.LBB7_834:                              ;   in Loop: Header=BB7_827 Depth=1
	global_load_dwordx2 v[8:9], v29, s[4:5]
	s_add_i32 s14, s8, -8
.LBB7_835:                              ;   in Loop: Header=BB7_827 Depth=1
	s_add_u32 s10, s0, 8
	s_addc_u32 s11, s1, 0
	s_cmp_gt_u32 s14, 7
	s_cbranch_scc1 .LBB7_839
; %bb.836:                              ;   in Loop: Header=BB7_827 Depth=1
	s_cmp_eq_u32 s14, 0
	s_cbranch_scc1 .LBB7_840
; %bb.837:                              ;   in Loop: Header=BB7_827 Depth=1
	s_mov_b64 s[10:11], 0
	v_mov_b64_e32 v[10:11], 0
	s_mov_b64 s[12:13], 0
.LBB7_838:                              ;   Parent Loop BB7_827 Depth=1
                                        ; =>  This Inner Loop Header: Depth=2
	s_add_u32 s16, s0, s12
	s_addc_u32 s17, s1, s13
	global_load_ubyte v2, v29, s[16:17]
	s_add_u32 s12, s12, 1
	s_addc_u32 s13, s13, 0
	s_waitcnt vmcnt(0)
	v_and_b32_e32 v28, 0xffff, v2
	v_lshlrev_b64 v[2:3], s10, v[28:29]
	s_add_u32 s10, s10, 8
	s_addc_u32 s11, s11, 0
	v_or_b32_e32 v10, v2, v10
	s_cmp_lg_u32 s14, s12
	v_or_b32_e32 v11, v3, v11
	s_cbranch_scc1 .LBB7_838
	s_branch .LBB7_841
.LBB7_839:                              ;   in Loop: Header=BB7_827 Depth=1
                                        ; implicit-def: $vgpr10_vgpr11
	s_mov_b32 s15, 0
	s_branch .LBB7_842
.LBB7_840:                              ;   in Loop: Header=BB7_827 Depth=1
	v_mov_b64_e32 v[10:11], 0
.LBB7_841:                              ;   in Loop: Header=BB7_827 Depth=1
	s_mov_b64 s[10:11], s[0:1]
	s_mov_b32 s15, 0
	s_cbranch_execnz .LBB7_843
.LBB7_842:                              ;   in Loop: Header=BB7_827 Depth=1
	global_load_dwordx2 v[10:11], v29, s[0:1]
	s_add_i32 s15, s14, -8
.LBB7_843:                              ;   in Loop: Header=BB7_827 Depth=1
	s_add_u32 s0, s10, 8
	s_addc_u32 s1, s11, 0
	s_cmp_gt_u32 s15, 7
	s_cbranch_scc1 .LBB7_847
; %bb.844:                              ;   in Loop: Header=BB7_827 Depth=1
	s_cmp_eq_u32 s15, 0
	s_cbranch_scc1 .LBB7_848
; %bb.845:                              ;   in Loop: Header=BB7_827 Depth=1
	s_mov_b64 s[0:1], 0
	v_mov_b64_e32 v[12:13], 0
	s_mov_b64 s[12:13], 0
.LBB7_846:                              ;   Parent Loop BB7_827 Depth=1
                                        ; =>  This Inner Loop Header: Depth=2
	s_add_u32 s16, s10, s12
	s_addc_u32 s17, s11, s13
	global_load_ubyte v2, v29, s[16:17]
	s_add_u32 s12, s12, 1
	s_addc_u32 s13, s13, 0
	s_waitcnt vmcnt(0)
	v_and_b32_e32 v28, 0xffff, v2
	v_lshlrev_b64 v[2:3], s0, v[28:29]
	s_add_u32 s0, s0, 8
	s_addc_u32 s1, s1, 0
	v_or_b32_e32 v12, v2, v12
	s_cmp_lg_u32 s15, s12
	v_or_b32_e32 v13, v3, v13
	s_cbranch_scc1 .LBB7_846
	s_branch .LBB7_849
.LBB7_847:                              ;   in Loop: Header=BB7_827 Depth=1
	s_mov_b32 s14, 0
	s_branch .LBB7_850
.LBB7_848:                              ;   in Loop: Header=BB7_827 Depth=1
	v_mov_b64_e32 v[12:13], 0
.LBB7_849:                              ;   in Loop: Header=BB7_827 Depth=1
	s_mov_b64 s[0:1], s[10:11]
	s_mov_b32 s14, 0
	s_cbranch_execnz .LBB7_851
.LBB7_850:                              ;   in Loop: Header=BB7_827 Depth=1
	global_load_dwordx2 v[12:13], v29, s[10:11]
	s_add_i32 s14, s15, -8
.LBB7_851:                              ;   in Loop: Header=BB7_827 Depth=1
	s_add_u32 s10, s0, 8
	s_addc_u32 s11, s1, 0
	s_cmp_gt_u32 s14, 7
	s_cbranch_scc1 .LBB7_855
; %bb.852:                              ;   in Loop: Header=BB7_827 Depth=1
	s_cmp_eq_u32 s14, 0
	s_cbranch_scc1 .LBB7_856
; %bb.853:                              ;   in Loop: Header=BB7_827 Depth=1
	s_mov_b64 s[10:11], 0
	v_mov_b64_e32 v[14:15], 0
	s_mov_b64 s[12:13], 0
.LBB7_854:                              ;   Parent Loop BB7_827 Depth=1
                                        ; =>  This Inner Loop Header: Depth=2
	s_add_u32 s16, s0, s12
	s_addc_u32 s17, s1, s13
	global_load_ubyte v2, v29, s[16:17]
	s_add_u32 s12, s12, 1
	s_addc_u32 s13, s13, 0
	s_waitcnt vmcnt(0)
	v_and_b32_e32 v28, 0xffff, v2
	v_lshlrev_b64 v[2:3], s10, v[28:29]
	s_add_u32 s10, s10, 8
	s_addc_u32 s11, s11, 0
	v_or_b32_e32 v14, v2, v14
	s_cmp_lg_u32 s14, s12
	v_or_b32_e32 v15, v3, v15
	s_cbranch_scc1 .LBB7_854
	s_branch .LBB7_857
.LBB7_855:                              ;   in Loop: Header=BB7_827 Depth=1
                                        ; implicit-def: $vgpr14_vgpr15
	s_mov_b32 s15, 0
	s_branch .LBB7_858
.LBB7_856:                              ;   in Loop: Header=BB7_827 Depth=1
	v_mov_b64_e32 v[14:15], 0
.LBB7_857:                              ;   in Loop: Header=BB7_827 Depth=1
	s_mov_b64 s[10:11], s[0:1]
	s_mov_b32 s15, 0
	s_cbranch_execnz .LBB7_859
.LBB7_858:                              ;   in Loop: Header=BB7_827 Depth=1
	global_load_dwordx2 v[14:15], v29, s[0:1]
	s_add_i32 s15, s14, -8
.LBB7_859:                              ;   in Loop: Header=BB7_827 Depth=1
	s_add_u32 s0, s10, 8
	s_addc_u32 s1, s11, 0
	s_cmp_gt_u32 s15, 7
	s_cbranch_scc1 .LBB7_863
; %bb.860:                              ;   in Loop: Header=BB7_827 Depth=1
	s_cmp_eq_u32 s15, 0
	s_cbranch_scc1 .LBB7_864
; %bb.861:                              ;   in Loop: Header=BB7_827 Depth=1
	s_mov_b64 s[0:1], 0
	v_mov_b64_e32 v[16:17], 0
	s_mov_b64 s[12:13], 0
.LBB7_862:                              ;   Parent Loop BB7_827 Depth=1
                                        ; =>  This Inner Loop Header: Depth=2
	s_add_u32 s16, s10, s12
	s_addc_u32 s17, s11, s13
	global_load_ubyte v2, v29, s[16:17]
	s_add_u32 s12, s12, 1
	s_addc_u32 s13, s13, 0
	s_waitcnt vmcnt(0)
	v_and_b32_e32 v28, 0xffff, v2
	v_lshlrev_b64 v[2:3], s0, v[28:29]
	s_add_u32 s0, s0, 8
	s_addc_u32 s1, s1, 0
	v_or_b32_e32 v16, v2, v16
	s_cmp_lg_u32 s15, s12
	v_or_b32_e32 v17, v3, v17
	s_cbranch_scc1 .LBB7_862
	s_branch .LBB7_865
.LBB7_863:                              ;   in Loop: Header=BB7_827 Depth=1
	s_mov_b32 s14, 0
	s_branch .LBB7_866
.LBB7_864:                              ;   in Loop: Header=BB7_827 Depth=1
	v_mov_b64_e32 v[16:17], 0
.LBB7_865:                              ;   in Loop: Header=BB7_827 Depth=1
	s_mov_b64 s[0:1], s[10:11]
	s_mov_b32 s14, 0
	s_cbranch_execnz .LBB7_867
.LBB7_866:                              ;   in Loop: Header=BB7_827 Depth=1
	global_load_dwordx2 v[16:17], v29, s[10:11]
	s_add_i32 s14, s15, -8
.LBB7_867:                              ;   in Loop: Header=BB7_827 Depth=1
	s_add_u32 s10, s0, 8
	s_addc_u32 s11, s1, 0
	s_cmp_gt_u32 s14, 7
	s_cbranch_scc1 .LBB7_871
; %bb.868:                              ;   in Loop: Header=BB7_827 Depth=1
	s_cmp_eq_u32 s14, 0
	s_cbranch_scc1 .LBB7_872
; %bb.869:                              ;   in Loop: Header=BB7_827 Depth=1
	s_mov_b64 s[10:11], 0
	v_mov_b64_e32 v[18:19], 0
	s_mov_b64 s[12:13], 0
.LBB7_870:                              ;   Parent Loop BB7_827 Depth=1
                                        ; =>  This Inner Loop Header: Depth=2
	s_add_u32 s16, s0, s12
	s_addc_u32 s17, s1, s13
	global_load_ubyte v2, v29, s[16:17]
	s_add_u32 s12, s12, 1
	s_addc_u32 s13, s13, 0
	s_waitcnt vmcnt(0)
	v_and_b32_e32 v28, 0xffff, v2
	v_lshlrev_b64 v[2:3], s10, v[28:29]
	s_add_u32 s10, s10, 8
	s_addc_u32 s11, s11, 0
	v_or_b32_e32 v18, v2, v18
	s_cmp_lg_u32 s14, s12
	v_or_b32_e32 v19, v3, v19
	s_cbranch_scc1 .LBB7_870
	s_branch .LBB7_873
.LBB7_871:                              ;   in Loop: Header=BB7_827 Depth=1
                                        ; implicit-def: $vgpr18_vgpr19
	s_mov_b32 s15, 0
	s_branch .LBB7_874
.LBB7_872:                              ;   in Loop: Header=BB7_827 Depth=1
	v_mov_b64_e32 v[18:19], 0
.LBB7_873:                              ;   in Loop: Header=BB7_827 Depth=1
	s_mov_b64 s[10:11], s[0:1]
	s_mov_b32 s15, 0
	s_cbranch_execnz .LBB7_875
.LBB7_874:                              ;   in Loop: Header=BB7_827 Depth=1
	global_load_dwordx2 v[18:19], v29, s[0:1]
	s_add_i32 s15, s14, -8
.LBB7_875:                              ;   in Loop: Header=BB7_827 Depth=1
	s_cmp_gt_u32 s15, 7
	s_cbranch_scc1 .LBB7_879
; %bb.876:                              ;   in Loop: Header=BB7_827 Depth=1
	s_cmp_eq_u32 s15, 0
	s_cbranch_scc1 .LBB7_880
; %bb.877:                              ;   in Loop: Header=BB7_827 Depth=1
	s_mov_b64 s[0:1], 0
	v_mov_b64_e32 v[20:21], 0
	s_mov_b64 s[12:13], s[10:11]
.LBB7_878:                              ;   Parent Loop BB7_827 Depth=1
                                        ; =>  This Inner Loop Header: Depth=2
	global_load_ubyte v2, v29, s[12:13]
	s_add_i32 s15, s15, -1
	s_waitcnt vmcnt(0)
	v_and_b32_e32 v28, 0xffff, v2
	v_lshlrev_b64 v[2:3], s0, v[28:29]
	s_add_u32 s0, s0, 8
	s_addc_u32 s1, s1, 0
	s_add_u32 s12, s12, 1
	s_addc_u32 s13, s13, 0
	v_or_b32_e32 v20, v2, v20
	s_cmp_lg_u32 s15, 0
	v_or_b32_e32 v21, v3, v21
	s_cbranch_scc1 .LBB7_878
	s_branch .LBB7_881
.LBB7_879:                              ;   in Loop: Header=BB7_827 Depth=1
	s_branch .LBB7_882
.LBB7_880:                              ;   in Loop: Header=BB7_827 Depth=1
	v_mov_b64_e32 v[20:21], 0
.LBB7_881:                              ;   in Loop: Header=BB7_827 Depth=1
	s_cbranch_execnz .LBB7_883
.LBB7_882:                              ;   in Loop: Header=BB7_827 Depth=1
	global_load_dwordx2 v[20:21], v29, s[10:11]
.LBB7_883:                              ;   in Loop: Header=BB7_827 Depth=1
	v_readfirstlane_b32 s0, v32
	v_mov_b64_e32 v[2:3], 0
	s_nop 0
	v_cmp_eq_u32_e64 s[0:1], s0, v32
	s_and_saveexec_b64 s[10:11], s[0:1]
	s_cbranch_execz .LBB7_889
; %bb.884:                              ;   in Loop: Header=BB7_827 Depth=1
	global_load_dwordx2 v[24:25], v29, s[2:3] offset:24 sc0 sc1
	s_waitcnt vmcnt(0)
	buffer_inv sc0 sc1
	global_load_dwordx2 v[2:3], v29, s[2:3] offset:40
	global_load_dwordx2 v[22:23], v29, s[2:3]
	s_waitcnt vmcnt(1)
	v_and_b32_e32 v2, v2, v24
	v_and_b32_e32 v3, v3, v25
	v_mul_lo_u32 v3, v3, 24
	v_mul_hi_u32 v27, v2, 24
	v_add_u32_e32 v3, v27, v3
	v_mul_lo_u32 v2, v2, 24
	s_waitcnt vmcnt(0)
	v_lshl_add_u64 v[2:3], v[22:23], 0, v[2:3]
	global_load_dwordx2 v[22:23], v[2:3], off sc0 sc1
	s_waitcnt vmcnt(0)
	global_atomic_cmpswap_x2 v[2:3], v29, v[22:25], s[2:3] offset:24 sc0 sc1
	s_waitcnt vmcnt(0)
	buffer_inv sc0 sc1
	v_cmp_ne_u64_e32 vcc, v[2:3], v[24:25]
	s_and_saveexec_b64 s[12:13], vcc
	s_cbranch_execz .LBB7_888
; %bb.885:                              ;   in Loop: Header=BB7_827 Depth=1
	s_mov_b64 s[14:15], 0
.LBB7_886:                              ;   Parent Loop BB7_827 Depth=1
                                        ; =>  This Inner Loop Header: Depth=2
	s_sleep 1
	global_load_dwordx2 v[22:23], v29, s[2:3] offset:40
	global_load_dwordx2 v[30:31], v29, s[2:3]
	v_mov_b64_e32 v[24:25], v[2:3]
	s_waitcnt vmcnt(1)
	v_and_b32_e32 v2, v22, v24
	s_waitcnt vmcnt(0)
	v_mad_u64_u32 v[2:3], s[16:17], v2, 24, v[30:31]
	v_and_b32_e32 v23, v23, v25
	v_mov_b32_e32 v22, v3
	v_mad_u64_u32 v[22:23], s[16:17], v23, 24, v[22:23]
	v_mov_b32_e32 v3, v22
	global_load_dwordx2 v[22:23], v[2:3], off sc0 sc1
	s_waitcnt vmcnt(0)
	global_atomic_cmpswap_x2 v[2:3], v29, v[22:25], s[2:3] offset:24 sc0 sc1
	s_waitcnt vmcnt(0)
	buffer_inv sc0 sc1
	v_cmp_eq_u64_e32 vcc, v[2:3], v[24:25]
	s_or_b64 s[14:15], vcc, s[14:15]
	s_andn2_b64 exec, exec, s[14:15]
	s_cbranch_execnz .LBB7_886
; %bb.887:                              ;   in Loop: Header=BB7_827 Depth=1
	s_or_b64 exec, exec, s[14:15]
.LBB7_888:                              ;   in Loop: Header=BB7_827 Depth=1
	s_or_b64 exec, exec, s[12:13]
.LBB7_889:                              ;   in Loop: Header=BB7_827 Depth=1
	s_or_b64 exec, exec, s[10:11]
	global_load_dwordx2 v[30:31], v29, s[2:3] offset:40
	global_load_dwordx4 v[22:25], v29, s[2:3]
	v_readfirstlane_b32 s11, v3
	v_readfirstlane_b32 s10, v2
	s_mov_b64 s[12:13], exec
	s_waitcnt vmcnt(1)
	v_readfirstlane_b32 s14, v30
	v_readfirstlane_b32 s15, v31
	s_and_b64 s[14:15], s[14:15], s[10:11]
	s_mul_i32 s16, s15, 24
	s_mul_hi_u32 s17, s14, 24
	s_add_i32 s17, s17, s16
	s_mul_i32 s16, s14, 24
	s_waitcnt vmcnt(0)
	v_lshl_add_u64 v[30:31], v[22:23], 0, s[16:17]
	s_and_saveexec_b64 s[16:17], s[0:1]
	s_cbranch_execz .LBB7_891
; %bb.890:                              ;   in Loop: Header=BB7_827 Depth=1
	v_mov_b64_e32 v[2:3], s[12:13]
	global_store_dwordx4 v[30:31], v[2:5], off offset:8
.LBB7_891:                              ;   in Loop: Header=BB7_827 Depth=1
	s_or_b64 exec, exec, s[16:17]
	s_lshl_b64 s[12:13], s[14:15], 12
	v_lshl_add_u64 v[2:3], v[24:25], 0, s[12:13]
	v_cmp_gt_u64_e64 s[12:13], s[6:7], 56
	s_and_b64 s[12:13], s[12:13], exec
	s_cselect_b32 s12, 0, 2
	s_lshl_b32 s13, s8, 2
	s_add_i32 s13, s13, 28
	v_and_b32_e32 v6, 0xffffff1f, v6
	s_and_b32 s13, s13, 0x1e0
	v_or_b32_e32 v6, s12, v6
	v_or_b32_e32 v6, s13, v6
	v_readfirstlane_b32 s12, v2
	v_readfirstlane_b32 s13, v3
	s_nop 4
	global_store_dwordx4 v26, v[6:9], s[12:13]
	global_store_dwordx4 v26, v[10:13], s[12:13] offset:16
	global_store_dwordx4 v26, v[14:17], s[12:13] offset:32
	;; [unrolled: 1-line block ×3, first 2 shown]
	s_and_saveexec_b64 s[12:13], s[0:1]
	s_cbranch_execz .LBB7_899
; %bb.892:                              ;   in Loop: Header=BB7_827 Depth=1
	global_load_dwordx2 v[14:15], v29, s[2:3] offset:32 sc0 sc1
	global_load_dwordx2 v[6:7], v29, s[2:3] offset:40
	v_mov_b32_e32 v12, s10
	v_mov_b32_e32 v13, s11
	s_waitcnt vmcnt(0)
	v_readfirstlane_b32 s14, v6
	v_readfirstlane_b32 s15, v7
	s_and_b64 s[14:15], s[14:15], s[10:11]
	s_mul_i32 s15, s15, 24
	s_mul_hi_u32 s16, s14, 24
	s_mul_i32 s14, s14, 24
	s_add_i32 s15, s16, s15
	v_lshl_add_u64 v[10:11], v[22:23], 0, s[14:15]
	global_store_dwordx2 v[10:11], v[14:15], off
	buffer_wbl2 sc0 sc1
	s_waitcnt vmcnt(0)
	global_atomic_cmpswap_x2 v[8:9], v29, v[12:15], s[2:3] offset:32 sc0 sc1
	s_waitcnt vmcnt(0)
	v_cmp_ne_u64_e32 vcc, v[8:9], v[14:15]
	s_and_saveexec_b64 s[14:15], vcc
	s_cbranch_execz .LBB7_895
; %bb.893:                              ;   in Loop: Header=BB7_827 Depth=1
	s_mov_b64 s[16:17], 0
.LBB7_894:                              ;   Parent Loop BB7_827 Depth=1
                                        ; =>  This Inner Loop Header: Depth=2
	s_sleep 1
	global_store_dwordx2 v[10:11], v[8:9], off
	v_mov_b32_e32 v6, s10
	v_mov_b32_e32 v7, s11
	buffer_wbl2 sc0 sc1
	s_waitcnt vmcnt(0)
	global_atomic_cmpswap_x2 v[6:7], v29, v[6:9], s[2:3] offset:32 sc0 sc1
	s_waitcnt vmcnt(0)
	v_cmp_eq_u64_e32 vcc, v[6:7], v[8:9]
	s_or_b64 s[16:17], vcc, s[16:17]
	v_mov_b64_e32 v[8:9], v[6:7]
	s_andn2_b64 exec, exec, s[16:17]
	s_cbranch_execnz .LBB7_894
.LBB7_895:                              ;   in Loop: Header=BB7_827 Depth=1
	s_or_b64 exec, exec, s[14:15]
	global_load_dwordx2 v[6:7], v29, s[2:3] offset:16
	s_mov_b64 s[16:17], exec
	v_mbcnt_lo_u32_b32 v8, s16, 0
	v_mbcnt_hi_u32_b32 v8, s17, v8
	v_cmp_eq_u32_e32 vcc, 0, v8
	s_and_saveexec_b64 s[14:15], vcc
	s_cbranch_execz .LBB7_897
; %bb.896:                              ;   in Loop: Header=BB7_827 Depth=1
	s_bcnt1_i32_b64 s16, s[16:17]
	v_mov_b32_e32 v28, s16
	buffer_wbl2 sc0 sc1
	s_waitcnt vmcnt(0)
	global_atomic_add_x2 v[6:7], v[28:29], off offset:8 sc1
.LBB7_897:                              ;   in Loop: Header=BB7_827 Depth=1
	s_or_b64 exec, exec, s[14:15]
	s_waitcnt vmcnt(0)
	global_load_dwordx2 v[8:9], v[6:7], off offset:16
	s_waitcnt vmcnt(0)
	v_cmp_eq_u64_e32 vcc, 0, v[8:9]
	s_cbranch_vccnz .LBB7_899
; %bb.898:                              ;   in Loop: Header=BB7_827 Depth=1
	global_load_dword v28, v[6:7], off offset:24
	s_waitcnt vmcnt(0)
	v_readfirstlane_b32 s14, v28
	s_and_b32 m0, s14, 0xffffff
	buffer_wbl2 sc0 sc1
	global_store_dwordx2 v[8:9], v[28:29], off sc0 sc1
	s_sendmsg sendmsg(MSG_INTERRUPT)
.LBB7_899:                              ;   in Loop: Header=BB7_827 Depth=1
	s_or_b64 exec, exec, s[12:13]
	v_mov_b32_e32 v27, v29
	v_lshl_add_u64 v[2:3], v[2:3], 0, v[26:27]
	s_branch .LBB7_903
.LBB7_900:                              ;   in Loop: Header=BB7_903 Depth=2
	s_or_b64 exec, exec, s[12:13]
	v_readfirstlane_b32 s12, v6
	s_cmp_eq_u32 s12, 0
	s_cbranch_scc1 .LBB7_902
; %bb.901:                              ;   in Loop: Header=BB7_903 Depth=2
	s_sleep 1
	s_cbranch_execnz .LBB7_903
	s_branch .LBB7_905
.LBB7_902:                              ;   in Loop: Header=BB7_827 Depth=1
	s_branch .LBB7_905
.LBB7_903:                              ;   Parent Loop BB7_827 Depth=1
                                        ; =>  This Inner Loop Header: Depth=2
	v_mov_b32_e32 v6, 1
	s_and_saveexec_b64 s[12:13], s[0:1]
	s_cbranch_execz .LBB7_900
; %bb.904:                              ;   in Loop: Header=BB7_903 Depth=2
	global_load_dword v6, v[30:31], off offset:20 sc0 sc1
	s_waitcnt vmcnt(0)
	buffer_inv sc0 sc1
	v_and_b32_e32 v6, 1, v6
	s_branch .LBB7_900
.LBB7_905:                              ;   in Loop: Header=BB7_827 Depth=1
	global_load_dwordx4 v[6:9], v[2:3], off
	s_and_saveexec_b64 s[12:13], s[0:1]
	s_cbranch_execz .LBB7_826
; %bb.906:                              ;   in Loop: Header=BB7_827 Depth=1
	global_load_dwordx2 v[2:3], v29, s[2:3] offset:40
	global_load_dwordx2 v[12:13], v29, s[2:3] offset:24 sc0 sc1
	global_load_dwordx2 v[8:9], v29, s[2:3]
	s_waitcnt vmcnt(2)
	v_readfirstlane_b32 s14, v2
	v_readfirstlane_b32 s15, v3
	s_add_u32 s16, s14, 1
	s_addc_u32 s17, s15, 0
	s_add_u32 s0, s16, s10
	s_addc_u32 s1, s17, s11
	s_cmp_eq_u64 s[0:1], 0
	s_cselect_b32 s1, s17, s1
	s_cselect_b32 s0, s16, s0
	s_and_b64 s[10:11], s[0:1], s[14:15]
	s_mul_i32 s11, s11, 24
	s_mul_hi_u32 s14, s10, 24
	s_mul_i32 s10, s10, 24
	s_add_i32 s11, s14, s11
	s_waitcnt vmcnt(0)
	v_lshl_add_u64 v[2:3], v[8:9], 0, s[10:11]
	v_mov_b32_e32 v10, s0
	global_store_dwordx2 v[2:3], v[12:13], off
	v_mov_b32_e32 v11, s1
	buffer_wbl2 sc0 sc1
	s_waitcnt vmcnt(0)
	global_atomic_cmpswap_x2 v[10:11], v29, v[10:13], s[2:3] offset:24 sc0 sc1
	s_waitcnt vmcnt(0)
	v_cmp_ne_u64_e32 vcc, v[10:11], v[12:13]
	s_and_b64 exec, exec, vcc
	s_cbranch_execz .LBB7_826
; %bb.907:                              ;   in Loop: Header=BB7_827 Depth=1
	s_mov_b64 s[10:11], 0
.LBB7_908:                              ;   Parent Loop BB7_827 Depth=1
                                        ; =>  This Inner Loop Header: Depth=2
	s_sleep 1
	global_store_dwordx2 v[2:3], v[10:11], off
	v_mov_b32_e32 v8, s0
	v_mov_b32_e32 v9, s1
	buffer_wbl2 sc0 sc1
	s_waitcnt vmcnt(0)
	global_atomic_cmpswap_x2 v[8:9], v29, v[8:11], s[2:3] offset:24 sc0 sc1
	s_waitcnt vmcnt(0)
	v_cmp_eq_u64_e32 vcc, v[8:9], v[10:11]
	s_or_b64 s[10:11], vcc, s[10:11]
	v_mov_b64_e32 v[10:11], v[8:9]
	s_andn2_b64 exec, exec, s[10:11]
	s_cbranch_execnz .LBB7_908
	s_branch .LBB7_826
.LBB7_909:
	s_branch .LBB7_937
.LBB7_910:
	s_cbranch_execz .LBB7_937
; %bb.911:
	v_readfirstlane_b32 s0, v32
	s_waitcnt vmcnt(0)
	v_mov_b64_e32 v[8:9], 0
	v_cmp_eq_u32_e64 s[0:1], s0, v32
	s_and_saveexec_b64 s[4:5], s[0:1]
	s_cbranch_execz .LBB7_917
; %bb.912:
	v_mov_b32_e32 v2, 0
	global_load_dwordx2 v[6:7], v2, s[2:3] offset:24 sc0 sc1
	s_waitcnt vmcnt(0)
	buffer_inv sc0 sc1
	global_load_dwordx2 v[4:5], v2, s[2:3] offset:40
	global_load_dwordx2 v[8:9], v2, s[2:3]
	s_waitcnt vmcnt(1)
	v_and_b32_e32 v3, v4, v6
	v_and_b32_e32 v4, v5, v7
	v_mul_lo_u32 v4, v4, 24
	v_mul_hi_u32 v5, v3, 24
	v_add_u32_e32 v5, v5, v4
	v_mul_lo_u32 v4, v3, 24
	s_waitcnt vmcnt(0)
	v_lshl_add_u64 v[4:5], v[8:9], 0, v[4:5]
	global_load_dwordx2 v[4:5], v[4:5], off sc0 sc1
	s_waitcnt vmcnt(0)
	global_atomic_cmpswap_x2 v[8:9], v2, v[4:7], s[2:3] offset:24 sc0 sc1
	s_waitcnt vmcnt(0)
	buffer_inv sc0 sc1
	v_cmp_ne_u64_e32 vcc, v[8:9], v[6:7]
	s_and_saveexec_b64 s[6:7], vcc
	s_cbranch_execz .LBB7_916
; %bb.913:
	s_mov_b64 s[8:9], 0
.LBB7_914:                              ; =>This Inner Loop Header: Depth=1
	s_sleep 1
	global_load_dwordx2 v[4:5], v2, s[2:3] offset:40
	global_load_dwordx2 v[10:11], v2, s[2:3]
	v_mov_b64_e32 v[6:7], v[8:9]
	s_waitcnt vmcnt(1)
	v_and_b32_e32 v4, v4, v6
	v_and_b32_e32 v3, v5, v7
	s_waitcnt vmcnt(0)
	v_mad_u64_u32 v[4:5], s[10:11], v4, 24, v[10:11]
	v_mov_b32_e32 v8, v5
	v_mad_u64_u32 v[8:9], s[10:11], v3, 24, v[8:9]
	v_mov_b32_e32 v5, v8
	global_load_dwordx2 v[4:5], v[4:5], off sc0 sc1
	s_waitcnt vmcnt(0)
	global_atomic_cmpswap_x2 v[8:9], v2, v[4:7], s[2:3] offset:24 sc0 sc1
	s_waitcnt vmcnt(0)
	buffer_inv sc0 sc1
	v_cmp_eq_u64_e32 vcc, v[8:9], v[6:7]
	s_or_b64 s[8:9], vcc, s[8:9]
	s_andn2_b64 exec, exec, s[8:9]
	s_cbranch_execnz .LBB7_914
; %bb.915:
	s_or_b64 exec, exec, s[8:9]
.LBB7_916:
	s_or_b64 exec, exec, s[6:7]
.LBB7_917:
	s_or_b64 exec, exec, s[4:5]
	v_mov_b32_e32 v2, 0
	global_load_dwordx2 v[10:11], v2, s[2:3] offset:40
	global_load_dwordx4 v[4:7], v2, s[2:3]
	v_readfirstlane_b32 s5, v9
	v_readfirstlane_b32 s4, v8
	s_mov_b64 s[6:7], exec
	s_waitcnt vmcnt(1)
	v_readfirstlane_b32 s8, v10
	v_readfirstlane_b32 s9, v11
	s_and_b64 s[8:9], s[8:9], s[4:5]
	s_mul_i32 s10, s9, 24
	s_mul_hi_u32 s11, s8, 24
	s_add_i32 s11, s11, s10
	s_mul_i32 s10, s8, 24
	s_waitcnt vmcnt(0)
	v_lshl_add_u64 v[8:9], v[4:5], 0, s[10:11]
	s_and_saveexec_b64 s[10:11], s[0:1]
	s_cbranch_execz .LBB7_919
; %bb.918:
	v_mov_b64_e32 v[10:11], s[6:7]
	v_mov_b32_e32 v12, 2
	v_mov_b32_e32 v13, 1
	global_store_dwordx4 v[8:9], v[10:13], off offset:8
.LBB7_919:
	s_or_b64 exec, exec, s[10:11]
	s_lshl_b64 s[6:7], s[8:9], 12
	v_lshl_add_u64 v[6:7], v[6:7], 0, s[6:7]
	s_movk_i32 s6, 0xff1d
	s_mov_b32 s8, 0
	v_and_or_b32 v0, v0, s6, 34
	v_mov_b32_e32 v3, v2
	v_readfirstlane_b32 s6, v6
	v_readfirstlane_b32 s7, v7
	s_mov_b32 s9, s8
	s_mov_b32 s10, s8
	;; [unrolled: 1-line block ×3, first 2 shown]
	s_nop 1
	global_store_dwordx4 v26, v[0:3], s[6:7]
	s_nop 1
	v_mov_b64_e32 v[0:1], s[8:9]
	v_mov_b64_e32 v[2:3], s[10:11]
	global_store_dwordx4 v26, v[0:3], s[6:7] offset:16
	global_store_dwordx4 v26, v[0:3], s[6:7] offset:32
	;; [unrolled: 1-line block ×3, first 2 shown]
	s_and_saveexec_b64 s[6:7], s[0:1]
	s_cbranch_execz .LBB7_927
; %bb.920:
	v_mov_b32_e32 v6, 0
	global_load_dwordx2 v[12:13], v6, s[2:3] offset:32 sc0 sc1
	global_load_dwordx2 v[0:1], v6, s[2:3] offset:40
	v_mov_b32_e32 v10, s4
	v_mov_b32_e32 v11, s5
	s_waitcnt vmcnt(0)
	v_readfirstlane_b32 s8, v0
	v_readfirstlane_b32 s9, v1
	s_and_b64 s[8:9], s[8:9], s[4:5]
	s_mul_i32 s9, s9, 24
	s_mul_hi_u32 s10, s8, 24
	s_mul_i32 s8, s8, 24
	s_add_i32 s9, s10, s9
	v_lshl_add_u64 v[4:5], v[4:5], 0, s[8:9]
	global_store_dwordx2 v[4:5], v[12:13], off
	buffer_wbl2 sc0 sc1
	s_waitcnt vmcnt(0)
	global_atomic_cmpswap_x2 v[2:3], v6, v[10:13], s[2:3] offset:32 sc0 sc1
	s_waitcnt vmcnt(0)
	v_cmp_ne_u64_e32 vcc, v[2:3], v[12:13]
	s_and_saveexec_b64 s[8:9], vcc
	s_cbranch_execz .LBB7_923
; %bb.921:
	s_mov_b64 s[10:11], 0
.LBB7_922:                              ; =>This Inner Loop Header: Depth=1
	s_sleep 1
	global_store_dwordx2 v[4:5], v[2:3], off
	v_mov_b32_e32 v0, s4
	v_mov_b32_e32 v1, s5
	buffer_wbl2 sc0 sc1
	s_waitcnt vmcnt(0)
	global_atomic_cmpswap_x2 v[0:1], v6, v[0:3], s[2:3] offset:32 sc0 sc1
	s_waitcnt vmcnt(0)
	v_cmp_eq_u64_e32 vcc, v[0:1], v[2:3]
	s_or_b64 s[10:11], vcc, s[10:11]
	v_mov_b64_e32 v[2:3], v[0:1]
	s_andn2_b64 exec, exec, s[10:11]
	s_cbranch_execnz .LBB7_922
.LBB7_923:
	s_or_b64 exec, exec, s[8:9]
	v_mov_b32_e32 v3, 0
	global_load_dwordx2 v[0:1], v3, s[2:3] offset:16
	s_mov_b64 s[8:9], exec
	v_mbcnt_lo_u32_b32 v2, s8, 0
	v_mbcnt_hi_u32_b32 v2, s9, v2
	v_cmp_eq_u32_e32 vcc, 0, v2
	s_and_saveexec_b64 s[10:11], vcc
	s_cbranch_execz .LBB7_925
; %bb.924:
	s_bcnt1_i32_b64 s8, s[8:9]
	v_mov_b32_e32 v2, s8
	buffer_wbl2 sc0 sc1
	s_waitcnt vmcnt(0)
	global_atomic_add_x2 v[0:1], v[2:3], off offset:8 sc1
.LBB7_925:
	s_or_b64 exec, exec, s[10:11]
	s_waitcnt vmcnt(0)
	global_load_dwordx2 v[2:3], v[0:1], off offset:16
	s_waitcnt vmcnt(0)
	v_cmp_eq_u64_e32 vcc, 0, v[2:3]
	s_cbranch_vccnz .LBB7_927
; %bb.926:
	global_load_dword v0, v[0:1], off offset:24
	v_mov_b32_e32 v1, 0
	s_waitcnt vmcnt(0)
	v_readfirstlane_b32 s8, v0
	s_and_b32 m0, s8, 0xffffff
	buffer_wbl2 sc0 sc1
	global_store_dwordx2 v[2:3], v[0:1], off sc0 sc1
	s_sendmsg sendmsg(MSG_INTERRUPT)
.LBB7_927:
	s_or_b64 exec, exec, s[6:7]
	s_branch .LBB7_931
.LBB7_928:                              ;   in Loop: Header=BB7_931 Depth=1
	s_or_b64 exec, exec, s[6:7]
	v_readfirstlane_b32 s6, v0
	s_cmp_eq_u32 s6, 0
	s_cbranch_scc1 .LBB7_930
; %bb.929:                              ;   in Loop: Header=BB7_931 Depth=1
	s_sleep 1
	s_cbranch_execnz .LBB7_931
	s_branch .LBB7_933
.LBB7_930:
	s_branch .LBB7_933
.LBB7_931:                              ; =>This Inner Loop Header: Depth=1
	v_mov_b32_e32 v0, 1
	s_and_saveexec_b64 s[6:7], s[0:1]
	s_cbranch_execz .LBB7_928
; %bb.932:                              ;   in Loop: Header=BB7_931 Depth=1
	global_load_dword v0, v[8:9], off offset:20 sc0 sc1
	s_waitcnt vmcnt(0)
	buffer_inv sc0 sc1
	v_and_b32_e32 v0, 1, v0
	s_branch .LBB7_928
.LBB7_933:
	s_and_saveexec_b64 s[6:7], s[0:1]
	s_cbranch_execz .LBB7_936
; %bb.934:
	v_mov_b32_e32 v6, 0
	global_load_dwordx2 v[0:1], v6, s[2:3] offset:40
	global_load_dwordx2 v[10:11], v6, s[2:3] offset:24 sc0 sc1
	global_load_dwordx2 v[2:3], v6, s[2:3]
	s_waitcnt vmcnt(2)
	v_readfirstlane_b32 s8, v0
	v_readfirstlane_b32 s9, v1
	s_add_u32 s10, s8, 1
	s_addc_u32 s11, s9, 0
	s_add_u32 s0, s10, s4
	s_addc_u32 s1, s11, s5
	s_cmp_eq_u64 s[0:1], 0
	s_cselect_b32 s1, s11, s1
	s_cselect_b32 s0, s10, s0
	s_and_b64 s[4:5], s[0:1], s[8:9]
	s_mul_i32 s5, s5, 24
	s_mul_hi_u32 s8, s4, 24
	s_mul_i32 s4, s4, 24
	s_add_i32 s5, s8, s5
	s_waitcnt vmcnt(0)
	v_lshl_add_u64 v[4:5], v[2:3], 0, s[4:5]
	v_mov_b32_e32 v8, s0
	global_store_dwordx2 v[4:5], v[10:11], off
	v_mov_b32_e32 v9, s1
	buffer_wbl2 sc0 sc1
	s_waitcnt vmcnt(0)
	global_atomic_cmpswap_x2 v[2:3], v6, v[8:11], s[2:3] offset:24 sc0 sc1
	s_mov_b64 s[4:5], 0
	s_waitcnt vmcnt(0)
	v_cmp_ne_u64_e32 vcc, v[2:3], v[10:11]
	s_and_b64 exec, exec, vcc
	s_cbranch_execz .LBB7_936
.LBB7_935:                              ; =>This Inner Loop Header: Depth=1
	s_sleep 1
	global_store_dwordx2 v[4:5], v[2:3], off
	v_mov_b32_e32 v0, s0
	v_mov_b32_e32 v1, s1
	buffer_wbl2 sc0 sc1
	s_waitcnt vmcnt(0)
	global_atomic_cmpswap_x2 v[0:1], v6, v[0:3], s[2:3] offset:24 sc0 sc1
	s_waitcnt vmcnt(0)
	v_cmp_eq_u64_e32 vcc, v[0:1], v[2:3]
	s_or_b64 s[4:5], vcc, s[4:5]
	v_mov_b64_e32 v[2:3], v[0:1]
	s_andn2_b64 exec, exec, s[4:5]
	s_cbranch_execnz .LBB7_935
.LBB7_936:
	s_or_b64 exec, exec, s[6:7]
.LBB7_937:
	s_add_u32 s8, s84, 0x80
	s_addc_u32 s9, s85, 0
	s_getpc_b64 s[0:1]
	s_add_u32 s0, s0, .str.29@rel32@lo+4
	s_addc_u32 s1, s1, .str.29@rel32@hi+12
	s_getpc_b64 s[2:3]
	s_add_u32 s2, s2, .str.19@rel32@lo+4
	s_addc_u32 s3, s3, .str.19@rel32@hi+12
	s_getpc_b64 s[4:5]
	s_add_u32 s4, s4, __PRETTY_FUNCTION__._ZN7VecsMemIjLi8192EE5fetchEi@rel32@lo+4
	s_addc_u32 s5, s5, __PRETTY_FUNCTION__._ZN7VecsMemIjLi8192EE5fetchEi@rel32@hi+12
	s_getpc_b64 s[6:7]
	s_add_u32 s6, s6, __assert_fail@rel32@lo+4
	s_addc_u32 s7, s7, __assert_fail@rel32@hi+12
	s_waitcnt vmcnt(0)
	v_mov_b32_e32 v0, s0
	v_mov_b32_e32 v1, s1
	;; [unrolled: 1-line block ×7, first 2 shown]
	s_swappc_b64 s[30:31], s[6:7]
	s_or_b64 s[22:23], s[22:23], exec
	s_or_b64 exec, exec, s[34:35]
	s_and_saveexec_b64 s[0:1], s[26:27]
	s_xor_b64 s[26:27], exec, s[0:1]
	s_cbranch_execz .LBB7_363
.LBB7_938:
	s_add_u32 s8, s84, 0x80
	s_addc_u32 s9, s85, 0
	s_getpc_b64 s[0:1]
	s_add_u32 s0, s0, .str.18@rel32@lo+4
	s_addc_u32 s1, s1, .str.18@rel32@hi+12
	s_getpc_b64 s[2:3]
	s_add_u32 s2, s2, .str.19@rel32@lo+4
	s_addc_u32 s3, s3, .str.19@rel32@hi+12
	s_getpc_b64 s[4:5]
	s_add_u32 s4, s4, __PRETTY_FUNCTION__._ZN7VecsMemIjLi8192EE6shrinkEi@rel32@lo+4
	s_addc_u32 s5, s5, __PRETTY_FUNCTION__._ZN7VecsMemIjLi8192EE6shrinkEi@rel32@hi+12
	s_getpc_b64 s[6:7]
	s_add_u32 s6, s6, __assert_fail@rel32@lo+4
	s_addc_u32 s7, s7, __assert_fail@rel32@hi+12
	v_mov_b32_e32 v0, s0
	v_mov_b32_e32 v1, s1
	;; [unrolled: 1-line block ×6, first 2 shown]
	s_waitcnt vmcnt(0)
	v_mov_b32_e32 v6, s5
	s_swappc_b64 s[30:31], s[6:7]
	s_or_b64 s[22:23], s[22:23], exec
	s_or_b64 exec, exec, s[26:27]
	s_and_saveexec_b64 s[26:27], s[24:25]
	s_cbranch_execz .LBB7_364
.LBB7_939:
	s_add_u32 s8, s84, 0x80
	s_addc_u32 s9, s85, 0
	s_getpc_b64 s[0:1]
	s_add_u32 s0, s0, .str.7@rel32@lo+4
	s_addc_u32 s1, s1, .str.7@rel32@hi+12
	s_getpc_b64 s[2:3]
	s_add_u32 s2, s2, .str.1@rel32@lo+4
	s_addc_u32 s3, s3, .str.1@rel32@hi+12
	s_getpc_b64 s[4:5]
	s_add_u32 s4, s4, __PRETTY_FUNCTION__._Z8resynCutPKiS0_S0_S0_PKyPKjiS0_PyPiS6_S6_PjS0_S4_ii@rel32@lo+4
	s_addc_u32 s5, s5, __PRETTY_FUNCTION__._Z8resynCutPKiS0_S0_S0_PKyPKjiS0_PyPiS6_S6_PjS0_S4_ii@rel32@hi+12
	s_getpc_b64 s[6:7]
	s_add_u32 s6, s6, __assert_fail@rel32@lo+4
	s_addc_u32 s7, s7, __assert_fail@rel32@hi+12
	v_mov_b32_e32 v0, s0
	v_mov_b32_e32 v1, s1
	;; [unrolled: 1-line block ×6, first 2 shown]
	s_waitcnt vmcnt(0)
	v_mov_b32_e32 v6, s5
	s_swappc_b64 s[30:31], s[6:7]
	s_or_b64 s[22:23], s[22:23], exec
	s_or_b64 exec, exec, s[26:27]
	s_and_saveexec_b64 s[0:1], s[22:23]
	s_cbranch_execz .LBB7_365
.LBB7_940:
	; divergent unreachable
	s_endpgm
	.section	.rodata,"a",@progbits
	.p2align	6, 0x0
	.amdhsa_kernel _Z8resynCutPKiS0_S0_S0_PKyPKjiS0_PyPiS6_S6_PjS0_S4_ii
		.amdhsa_group_segment_fixed_size 0
		.amdhsa_private_segment_fixed_size 41408
		.amdhsa_kernarg_size 384
		.amdhsa_user_sgpr_count 2
		.amdhsa_user_sgpr_dispatch_ptr 0
		.amdhsa_user_sgpr_queue_ptr 0
		.amdhsa_user_sgpr_kernarg_segment_ptr 1
		.amdhsa_user_sgpr_dispatch_id 0
		.amdhsa_user_sgpr_kernarg_preload_length 0
		.amdhsa_user_sgpr_kernarg_preload_offset 0
		.amdhsa_user_sgpr_private_segment_size 0
		.amdhsa_uses_dynamic_stack 1
		.amdhsa_enable_private_segment 1
		.amdhsa_system_sgpr_workgroup_id_x 1
		.amdhsa_system_sgpr_workgroup_id_y 0
		.amdhsa_system_sgpr_workgroup_id_z 0
		.amdhsa_system_sgpr_workgroup_info 0
		.amdhsa_system_vgpr_workitem_id 0
		.amdhsa_next_free_vgpr 110
		.amdhsa_next_free_sgpr 100
		.amdhsa_accum_offset 112
		.amdhsa_reserve_vcc 1
		.amdhsa_float_round_mode_32 0
		.amdhsa_float_round_mode_16_64 0
		.amdhsa_float_denorm_mode_32 3
		.amdhsa_float_denorm_mode_16_64 3
		.amdhsa_dx10_clamp 1
		.amdhsa_ieee_mode 1
		.amdhsa_fp16_overflow 0
		.amdhsa_tg_split 0
		.amdhsa_exception_fp_ieee_invalid_op 0
		.amdhsa_exception_fp_denorm_src 0
		.amdhsa_exception_fp_ieee_div_zero 0
		.amdhsa_exception_fp_ieee_overflow 0
		.amdhsa_exception_fp_ieee_underflow 0
		.amdhsa_exception_fp_ieee_inexact 0
		.amdhsa_exception_int_div_zero 0
	.end_amdhsa_kernel
	.text
.Lfunc_end7:
	.size	_Z8resynCutPKiS0_S0_S0_PKyPKjiS0_PyPiS6_S6_PjS0_S4_ii, .Lfunc_end7-_Z8resynCutPKiS0_S0_S0_PKyPKjiS0_PyPiS6_S6_PjS0_S4_ii
                                        ; -- End function
	.set _Z8resynCutPKiS0_S0_S0_PKyPKjiS0_PyPiS6_S6_PjS0_S4_ii.num_vgpr, max(110, .L_ZN3sop13minatoIsopRecEPKjS1_iPNS_3SopEP7VecsMemIjLi8192EE.num_vgpr, .L_ZN3sop12sopFactorRecEPNS_3SopEiP7VecsMemIjLi8192EEPN8subgUtil4SubgILi256EEE.num_vgpr, .L__assert_fail.num_vgpr)
	.set _Z8resynCutPKiS0_S0_S0_PKyPKjiS0_PyPiS6_S6_PjS0_S4_ii.num_agpr, max(0, .L_ZN3sop13minatoIsopRecEPKjS1_iPNS_3SopEP7VecsMemIjLi8192EE.num_agpr, .L_ZN3sop12sopFactorRecEPNS_3SopEiP7VecsMemIjLi8192EEPN8subgUtil4SubgILi256EEE.num_agpr, .L__assert_fail.num_agpr)
	.set _Z8resynCutPKiS0_S0_S0_PKyPKjiS0_PyPiS6_S6_PjS0_S4_ii.numbered_sgpr, max(100, .L_ZN3sop13minatoIsopRecEPKjS1_iPNS_3SopEP7VecsMemIjLi8192EE.numbered_sgpr, .L_ZN3sop12sopFactorRecEPNS_3SopEiP7VecsMemIjLi8192EEPN8subgUtil4SubgILi256EEE.numbered_sgpr, .L__assert_fail.numbered_sgpr)
	.set _Z8resynCutPKiS0_S0_S0_PKyPKjiS0_PyPiS6_S6_PjS0_S4_ii.num_named_barrier, max(0, .L_ZN3sop13minatoIsopRecEPKjS1_iPNS_3SopEP7VecsMemIjLi8192EE.num_named_barrier, .L_ZN3sop12sopFactorRecEPNS_3SopEiP7VecsMemIjLi8192EEPN8subgUtil4SubgILi256EEE.num_named_barrier, .L__assert_fail.num_named_barrier)
	.set _Z8resynCutPKiS0_S0_S0_PKyPKjiS0_PyPiS6_S6_PjS0_S4_ii.private_seg_size, 41072+max(.L_ZN3sop13minatoIsopRecEPKjS1_iPNS_3SopEP7VecsMemIjLi8192EE.private_seg_size, .L_ZN3sop12sopFactorRecEPNS_3SopEiP7VecsMemIjLi8192EEPN8subgUtil4SubgILi256EEE.private_seg_size, .L__assert_fail.private_seg_size)
	.set _Z8resynCutPKiS0_S0_S0_PKyPKjiS0_PyPiS6_S6_PjS0_S4_ii.uses_vcc, or(1, .L_ZN3sop13minatoIsopRecEPKjS1_iPNS_3SopEP7VecsMemIjLi8192EE.uses_vcc, .L_ZN3sop12sopFactorRecEPNS_3SopEiP7VecsMemIjLi8192EEPN8subgUtil4SubgILi256EEE.uses_vcc, .L__assert_fail.uses_vcc)
	.set _Z8resynCutPKiS0_S0_S0_PKyPKjiS0_PyPiS6_S6_PjS0_S4_ii.uses_flat_scratch, or(0, .L_ZN3sop13minatoIsopRecEPKjS1_iPNS_3SopEP7VecsMemIjLi8192EE.uses_flat_scratch, .L_ZN3sop12sopFactorRecEPNS_3SopEiP7VecsMemIjLi8192EEPN8subgUtil4SubgILi256EEE.uses_flat_scratch, .L__assert_fail.uses_flat_scratch)
	.set _Z8resynCutPKiS0_S0_S0_PKyPKjiS0_PyPiS6_S6_PjS0_S4_ii.has_dyn_sized_stack, or(0, .L_ZN3sop13minatoIsopRecEPKjS1_iPNS_3SopEP7VecsMemIjLi8192EE.has_dyn_sized_stack, .L_ZN3sop12sopFactorRecEPNS_3SopEiP7VecsMemIjLi8192EEPN8subgUtil4SubgILi256EEE.has_dyn_sized_stack, .L__assert_fail.has_dyn_sized_stack)
	.set _Z8resynCutPKiS0_S0_S0_PKyPKjiS0_PyPiS6_S6_PjS0_S4_ii.has_recursion, or(1, .L_ZN3sop13minatoIsopRecEPKjS1_iPNS_3SopEP7VecsMemIjLi8192EE.has_recursion, .L_ZN3sop12sopFactorRecEPNS_3SopEiP7VecsMemIjLi8192EEPN8subgUtil4SubgILi256EEE.has_recursion, .L__assert_fail.has_recursion)
	.set _Z8resynCutPKiS0_S0_S0_PKyPKjiS0_PyPiS6_S6_PjS0_S4_ii.has_indirect_call, or(0, .L_ZN3sop13minatoIsopRecEPKjS1_iPNS_3SopEP7VecsMemIjLi8192EE.has_indirect_call, .L_ZN3sop12sopFactorRecEPNS_3SopEiP7VecsMemIjLi8192EEPN8subgUtil4SubgILi256EEE.has_indirect_call, .L__assert_fail.has_indirect_call)
	.section	.AMDGPU.csdata,"",@progbits
; Kernel info:
; codeLenInByte = 45824
; TotalNumSgprs: 106
; NumVgprs: 110
; NumAgprs: 0
; TotalNumVgprs: 110
; ScratchSize: 41408
; MemoryBound: 0
; FloatMode: 240
; IeeeMode: 1
; LDSByteSize: 0 bytes/workgroup (compile time only)
; SGPRBlocks: 13
; VGPRBlocks: 13
; NumSGPRsForWavesPerEU: 106
; NumVGPRsForWavesPerEU: 110
; AccumOffset: 112
; Occupancy: 4
; WaveLimiterHint : 1
; COMPUTE_PGM_RSRC2:SCRATCH_EN: 1
; COMPUTE_PGM_RSRC2:USER_SGPR: 2
; COMPUTE_PGM_RSRC2:TRAP_HANDLER: 0
; COMPUTE_PGM_RSRC2:TGID_X_EN: 1
; COMPUTE_PGM_RSRC2:TGID_Y_EN: 0
; COMPUTE_PGM_RSRC2:TGID_Z_EN: 0
; COMPUTE_PGM_RSRC2:TIDIG_COMP_CNT: 0
; COMPUTE_PGM_RSRC3_GFX90A:ACCUM_OFFSET: 27
; COMPUTE_PGM_RSRC3_GFX90A:TG_SPLIT: 0
	.text
	.protected	_Z15factorFromTruthPKiS0_PyPiS2_S2_PKjS4_S0_S4_i ; -- Begin function _Z15factorFromTruthPKiS0_PyPiS2_S2_PKjS4_S0_S4_i
	.globl	_Z15factorFromTruthPKiS0_PyPiS2_S2_PKjS4_S0_S4_i
	.p2align	8
	.type	_Z15factorFromTruthPKiS0_PyPiS2_S2_PKjS4_S0_S4_i,@function
_Z15factorFromTruthPKiS0_PyPiS2_S2_PKjS4_S0_S4_i: ; @_Z15factorFromTruthPKiS0_PyPiS2_S2_PKjS4_S0_S4_i
; %bb.0:
	s_mov_b64 s[40:41], s[0:1]
	s_load_dword s0, s[0:1], 0x64
	s_nop 0
	s_load_dword s6, s[40:41], 0x50
	s_add_u32 s4, s40, 0x58
	s_addc_u32 s5, s41, 0
	v_mov_b32_e32 v62, 0
	s_waitcnt lgkmcnt(0)
	s_and_b32 s0, s0, 0xffff
	s_mul_i32 s2, s2, s0
	s_mov_b32 s0, 0x8020
                                        ; implicit-def: $vgpr46 : SGPR spill to VGPR lane
	v_add_u32_e32 v0, s2, v0
	scratch_store_dword off, v62, s0
	s_lshl_b32 s0, s6, 1
	v_writelane_b32 v46, s4, 0
	v_cmp_gt_i32_e32 vcc, s0, v0
	s_mov_b64 s[2:3], -1
	s_mov_b64 s[0:1], 0
	s_mov_b64 s[28:29], 0
	;; [unrolled: 1-line block ×4, first 2 shown]
	s_mov_b32 s32, 0x8830
	v_writelane_b32 v46, s5, 1
	s_and_saveexec_b64 s[42:43], vcc
	s_cbranch_execz .LBB8_415
; %bb.1:
	s_load_dwordx16 s[44:59], s[40:41], 0x0
	v_cmp_gt_i32_e64 s[0:1], s6, v0
	v_mov_b32_e32 v1, s6
	v_cmp_le_i32_e64 s[24:25], s6, v0
	v_writelane_b32 v46, s0, 2
	v_mov_b64_e32 v[2:3], 0
	v_cndmask_b32_e64 v1, 0, v1, s[24:25]
	v_writelane_b32 v46, s1, 3
	v_sub_u32_e32 v90, v0, v1
	v_cmp_ne_u32_e32 vcc, v0, v1
	v_writelane_b32 v46, s6, 4
	s_and_saveexec_b64 s[0:1], vcc
	s_cbranch_execz .LBB8_3
; %bb.2:
	v_ashrrev_i32_e32 v91, 31, v90
	s_waitcnt lgkmcnt(0)
	v_lshl_add_u64 v[0:1], v[90:91], 2, s[46:47]
	global_load_dword v62, v[0:1], off offset:-4
	v_mov_b64_e32 v[2:3], v[90:91]
.LBB8_3:
	s_or_b64 exec, exec, s[0:1]
	s_waitcnt lgkmcnt(0)
	v_lshl_add_u64 v[0:1], v[2:3], 2, s[46:47]
	global_load_dword v42, v[0:1], off
	s_load_dwordx2 s[0:1], s[40:41], 0x40
	v_mov_b32_e32 v0, 0
	s_waitcnt lgkmcnt(0)
	v_lshl_add_u64 v[2:3], v[2:3], 2, s[0:1]
	s_and_saveexec_b64 s[0:1], vcc
	s_cbranch_execz .LBB8_5
; %bb.4:
	global_load_dword v0, v[2:3], off offset:-4
.LBB8_5:
	s_or_b64 exec, exec, s[0:1]
	global_load_dword v1, v[2:3], off
	s_waitcnt vmcnt(1)
	v_sub_u32_e32 v41, v42, v62
	v_add_u32_e32 v2, -5, v41
	v_lshlrev_b32_e64 v2, v2, 1
	v_cmp_lt_i32_e32 vcc, 5, v41
	s_mov_b64 s[0:1], 0
	s_mov_b64 s[26:27], 0
	v_cndmask_b32_e32 v2, 1, v2, vcc
	v_writelane_b32 v46, s0, 5
	s_waitcnt vmcnt(0)
	v_sub_u32_e32 v92, v1, v0
	v_cmp_ne_u32_e32 vcc, v92, v2
	v_writelane_b32 v46, s1, 6
	s_and_saveexec_b64 s[0:1], vcc
	s_xor_b64 s[22:23], exec, s[0:1]
	s_cbranch_execz .LBB8_7
; %bb.6:
	s_add_u32 s8, s40, 0x58
	s_addc_u32 s9, s41, 0
	s_getpc_b64 s[0:1]
	s_add_u32 s0, s0, .str.12@rel32@lo+4
	s_addc_u32 s1, s1, .str.12@rel32@hi+12
	s_getpc_b64 s[2:3]
	s_add_u32 s2, s2, .str.1@rel32@lo+4
	s_addc_u32 s3, s3, .str.1@rel32@hi+12
	s_getpc_b64 s[4:5]
	s_add_u32 s4, s4, __PRETTY_FUNCTION__._Z15factorFromTruthPKiS0_PyPiS2_S2_PKjS4_S0_S4_i@rel32@lo+4
	s_addc_u32 s5, s5, __PRETTY_FUNCTION__._Z15factorFromTruthPKiS0_PyPiS2_S2_PKjS4_S0_S4_i@rel32@hi+12
	s_getpc_b64 s[6:7]
	s_add_u32 s6, s6, __assert_fail@rel32@lo+4
	s_addc_u32 s7, s7, __assert_fail@rel32@hi+12
	v_mov_b32_e32 v0, s0
	v_mov_b32_e32 v1, s1
	;; [unrolled: 1-line block ×7, first 2 shown]
	s_swappc_b64 s[30:31], s[6:7]
	s_mov_b64 s[0:1], exec
	v_writelane_b32 v46, s0, 5
                                        ; implicit-def: $vgpr92
                                        ; implicit-def: $vgpr41
                                        ; implicit-def: $vgpr0
                                        ; implicit-def: $vgpr90
                                        ; implicit-def: $vgpr62
                                        ; implicit-def: $vgpr42
	s_nop 1
	v_writelane_b32 v46, s1, 6
.LBB8_7:
	s_or_saveexec_b64 s[0:1], s[22:23]
	s_mov_b64 s[2:3], 0
	s_mov_b64 s[6:7], 0
	;; [unrolled: 1-line block ×3, first 2 shown]
	v_writelane_b32 v46, s0, 7
	s_nop 1
	v_writelane_b32 v46, s1, 8
	s_xor_b64 exec, exec, s[0:1]
	s_cbranch_execz .LBB8_414
; %bb.8:
	v_writelane_b32 v46, s42, 9
	v_mov_b32_e32 v2, s57
	v_mov_b32_e32 v3, s59
	v_writelane_b32 v46, s43, 10
	v_cndmask_b32_e64 v3, v2, v3, s[24:25]
	v_mov_b32_e32 v2, s56
	v_writelane_b32 v46, s44, 11
	s_mov_b64 s[4:5], src_private_base
	v_ashrrev_i32_e32 v1, 31, v0
	v_writelane_b32 v46, s45, 12
	v_writelane_b32 v46, s46, 13
	;; [unrolled: 1-line block ×16, first 2 shown]
	v_mov_b32_e32 v4, s58
	s_add_u32 s8, s40, 0x58
	v_writelane_b32 v46, s25, 28
	v_cndmask_b32_e64 v2, v2, v4, s[24:25]
	v_writelane_b32 v46, s40, 29
	v_lshl_add_u64 v[60:61], v[0:1], 2, v[2:3]
	s_addc_u32 s9, s41, 0
	v_writelane_b32 v46, s41, 30
	s_mov_b32 s3, s5
	v_mov_b32_e32 v93, 0
	s_getpc_b64 s[0:1]
	s_add_u32 s0, s0, _ZN3sop13minatoIsopRecEPKjS1_iPNS_3SopEP7VecsMemIjLi8192EE@rel32@lo+4
	s_addc_u32 s1, s1, _ZN3sop13minatoIsopRecEPKjS1_iPNS_3SopEP7VecsMemIjLi8192EE@rel32@hi+12
	v_mov_b32_e32 v0, v60
	v_mov_b32_e32 v1, v61
	v_mov_b32_e32 v2, v60
	v_mov_b32_e32 v3, v61
	v_mov_b32_e32 v4, v41
	v_mov_b32_e32 v5, 8
	v_mov_b32_e32 v6, s5
	v_mov_b32_e32 v7, 24
	v_writelane_b32 v46, s2, 31
	v_mov_b32_e32 v8, s5
	scratch_store_dword off, v93, off offset:24
	v_writelane_b32 v46, s3, 32
	s_swappc_b64 s[30:31], s[0:1]
	s_mov_b64 s[2:3], 0
                                        ; implicit-def: $sgpr0_sgpr1
                                        ; implicit-def: $sgpr6_sgpr7
                                        ; implicit-def: $sgpr4_sgpr5
	s_branch .LBB8_10
.LBB8_9:                                ;   in Loop: Header=BB8_10 Depth=1
	s_or_b64 exec, exec, s[8:9]
	s_xor_b64 s[8:9], s[4:5], -1
	s_and_b64 s[10:11], exec, s[6:7]
	s_or_b64 s[2:3], s[10:11], s[2:3]
	s_andn2_b64 s[0:1], s[0:1], exec
	s_and_b64 s[8:9], s[8:9], exec
	s_or_b64 s[0:1], s[0:1], s[8:9]
	s_andn2_b64 exec, exec, s[2:3]
	s_cbranch_execz .LBB8_12
.LBB8_10:                               ; =>This Inner Loop Header: Depth=1
	v_cmp_lt_i32_e32 vcc, 0, v92
	s_or_b64 s[4:5], s[4:5], exec
	s_or_b64 s[6:7], s[6:7], exec
	s_and_saveexec_b64 s[8:9], vcc
	s_cbranch_execz .LBB8_9
; %bb.11:                               ;   in Loop: Header=BB8_10 Depth=1
	v_add_u32_e32 v92, -1, v92
	v_lshlrev_b64 v[2:3], 2, v[92:93]
	v_lshl_add_u64 v[4:5], v[60:61], 0, v[2:3]
	v_lshl_add_u64 v[2:3], v[0:1], 0, v[2:3]
	global_load_dword v4, v[4:5], off
	s_andn2_b64 s[6:7], s[6:7], exec
	flat_load_dword v2, v[2:3]
	s_andn2_b64 s[4:5], s[4:5], exec
	s_waitcnt vmcnt(0) lgkmcnt(0)
	v_cmp_ne_u32_e32 vcc, v4, v2
	s_and_b64 s[10:11], vcc, exec
	s_or_b64 s[6:7], s[6:7], s[10:11]
	s_branch .LBB8_9
.LBB8_12:
	s_or_b64 exec, exec, s[2:3]
	v_readlane_b32 s98, v46, 5
	v_readlane_b32 s99, v46, 6
	s_mov_b64 s[72:73], s[98:99]
	s_and_saveexec_b64 s[2:3], s[0:1]
	v_readlane_b32 s40, v46, 29
	s_xor_b64 s[22:23], exec, s[2:3]
	v_readlane_b32 s41, v46, 30
	s_cbranch_execz .LBB8_14
; %bb.13:
	s_add_u32 s8, s40, 0x58
	s_addc_u32 s9, s41, 0
	s_getpc_b64 s[0:1]
	s_add_u32 s0, s0, .str.15@rel32@lo+4
	s_addc_u32 s1, s1, .str.15@rel32@hi+12
	s_getpc_b64 s[2:3]
	s_add_u32 s2, s2, .str.16@rel32@lo+4
	s_addc_u32 s3, s3, .str.16@rel32@hi+12
	s_getpc_b64 s[4:5]
	s_add_u32 s4, s4, __PRETTY_FUNCTION__._ZN3sop10minatoIsopEPKjiP7VecsMemIjLi8192EE@rel32@lo+4
	s_addc_u32 s5, s5, __PRETTY_FUNCTION__._ZN3sop10minatoIsopEPKjiP7VecsMemIjLi8192EE@rel32@hi+12
	s_getpc_b64 s[6:7]
	s_add_u32 s6, s6, __assert_fail@rel32@lo+4
	s_addc_u32 s7, s7, __assert_fail@rel32@hi+12
	v_mov_b32_e32 v0, s0
	v_mov_b32_e32 v1, s1
	;; [unrolled: 1-line block ×7, first 2 shown]
	s_swappc_b64 s[30:31], s[6:7]
	v_readlane_b32 s0, v46, 5
	v_readlane_b32 s1, v46, 6
	s_or_b64 s[72:73], s[0:1], exec
                                        ; implicit-def: $vgpr90
                                        ; implicit-def: $vgpr41
                                        ; implicit-def: $vgpr62
                                        ; implicit-def: $vgpr42
.LBB8_14:
	s_or_saveexec_b64 s[60:61], s[22:23]
	v_readlane_b32 s42, v46, 9
	s_mov_b64 s[0:1], 0
	s_mov_b64 s[4:5], 0
	;; [unrolled: 1-line block ×4, first 2 shown]
	v_readlane_b32 s43, v46, 10
	s_xor_b64 exec, exec, s[60:61]
	s_cbranch_execz .LBB8_413
; %bb.15:
	scratch_load_dword v43, off, off offset:12
	s_mov_b64 s[2:3], 0
	s_mov_b64 s[22:23], 0
	s_waitcnt vmcnt(0)
	v_cmp_lt_i32_e32 vcc, 0, v43
	s_and_saveexec_b64 s[0:1], vcc
	s_xor_b64 s[4:5], exec, s[0:1]
	s_cbranch_execz .LBB8_19
; %bb.16:
	v_cmp_eq_u32_e32 vcc, 1, v43
	s_mov_b64 s[0:1], -1
	s_and_saveexec_b64 s[6:7], vcc
	s_cbranch_execz .LBB8_18
; %bb.17:
	scratch_load_dwordx2 v[0:1], off, off offset:16
	s_waitcnt vmcnt(0)
	flat_load_dword v0, v[0:1]
	s_waitcnt vmcnt(0) lgkmcnt(0)
	v_cmp_eq_u32_e32 vcc, 0, v0
	v_cmp_ne_u32_e64 s[0:1], 0, v0
	s_and_b64 s[2:3], vcc, exec
	s_orn2_b64 s[0:1], s[0:1], exec
.LBB8_18:
	s_or_b64 exec, exec, s[6:7]
	s_and_b64 s[22:23], s[2:3], exec
	s_and_b64 s[2:3], s[0:1], exec
.LBB8_19:
	s_andn2_saveexec_b64 s[0:1], s[4:5]
; %bb.20:
	v_cmp_ne_u32_e32 vcc, 0, v43
	s_andn2_b64 s[2:3], s[2:3], exec
	s_and_b64 s[4:5], vcc, exec
	s_or_b64 s[22:23], s[22:23], exec
	s_or_b64 s[2:3], s[2:3], s[4:5]
; %bb.21:
	s_or_b64 exec, exec, s[0:1]
	s_mov_b64 s[62:63], 0
	s_mov_b64 s[0:1], 0
	;; [unrolled: 1-line block ×3, first 2 shown]
	s_and_saveexec_b64 s[24:25], s[2:3]
	s_cbranch_execz .LBB8_180
; %bb.22:
	v_cmp_lt_i32_e32 vcc, 0, v43
	s_mov_b64 s[0:1], -1
	v_mov_b32_e32 v44, -1
	s_mov_b64 s[34:35], s[72:73]
	s_and_saveexec_b64 s[26:27], vcc
	s_cbranch_execz .LBB8_166
; %bb.23:
	scratch_load_dword v0, off, off offset:24
	s_movk_i32 s0, 0x2001
	s_mov_b64 s[28:29], 0
	v_mov_b32_e32 v44, -1
	s_waitcnt vmcnt(0)
	v_add_u32_e32 v1, v0, v43
	v_cmp_gt_i32_e32 vcc, s0, v1
	s_and_saveexec_b64 s[0:1], vcc
	s_xor_b64 s[0:1], exec, s[0:1]
	s_cbranch_execz .LBB8_25
; %bb.24:
	v_lshlrev_b32_e32 v0, 2, v0
	s_mov_b32 s2, 24
	s_mov_b64 s[28:29], exec
	scratch_store_dword off, v1, off offset:24
	v_add3_u32 v44, s2, v0, 4
.LBB8_25:
	s_or_saveexec_b64 s[34:35], s[0:1]
	s_mov_b64 s[0:1], s[72:73]
	s_xor_b64 exec, exec, s[34:35]
	s_cbranch_execz .LBB8_165
; %bb.26:
	v_readlane_b32 s0, v46, 0
	v_readlane_b32 s1, v46, 1
	s_load_dwordx2 s[2:3], s[0:1], 0x50
	v_mbcnt_lo_u32_b32 v0, -1, 0
	v_mbcnt_hi_u32_b32 v32, -1, v0
	v_mov_b64_e32 v[4:5], 0
	v_readfirstlane_b32 s0, v32
	s_nop 1
	v_cmp_eq_u32_e64 s[0:1], s0, v32
	s_and_saveexec_b64 s[4:5], s[0:1]
	s_cbranch_execz .LBB8_31
; %bb.27:
	v_mov_b32_e32 v0, 0
	s_waitcnt lgkmcnt(0)
	global_load_dwordx2 v[6:7], v0, s[2:3] offset:24 sc0 sc1
	s_waitcnt vmcnt(0)
	buffer_inv sc0 sc1
	global_load_dwordx2 v[2:3], v0, s[2:3] offset:40
	global_load_dwordx2 v[4:5], v0, s[2:3]
	s_waitcnt vmcnt(1)
	v_and_b32_e32 v1, v2, v6
	v_and_b32_e32 v2, v3, v7
	v_mul_lo_u32 v2, v2, 24
	v_mul_hi_u32 v3, v1, 24
	v_add_u32_e32 v3, v3, v2
	v_mul_lo_u32 v2, v1, 24
	s_waitcnt vmcnt(0)
	v_lshl_add_u64 v[2:3], v[4:5], 0, v[2:3]
	global_load_dwordx2 v[4:5], v[2:3], off sc0 sc1
	s_waitcnt vmcnt(0)
	global_atomic_cmpswap_x2 v[4:5], v0, v[4:7], s[2:3] offset:24 sc0 sc1
	s_waitcnt vmcnt(0)
	buffer_inv sc0 sc1
	v_cmp_ne_u64_e32 vcc, v[4:5], v[6:7]
	s_and_saveexec_b64 s[6:7], vcc
	s_cbranch_execz .LBB8_30
.LBB8_28:                               ; =>This Inner Loop Header: Depth=1
	s_sleep 1
	global_load_dwordx2 v[2:3], v0, s[2:3] offset:40
	global_load_dwordx2 v[8:9], v0, s[2:3]
	v_mov_b64_e32 v[6:7], v[4:5]
	s_waitcnt vmcnt(1)
	v_and_b32_e32 v2, v2, v6
	v_and_b32_e32 v1, v3, v7
	s_waitcnt vmcnt(0)
	v_mad_u64_u32 v[2:3], s[10:11], v2, 24, v[8:9]
	v_mov_b32_e32 v4, v3
	v_mad_u64_u32 v[4:5], s[10:11], v1, 24, v[4:5]
	v_mov_b32_e32 v3, v4
	global_load_dwordx2 v[4:5], v[2:3], off sc0 sc1
	s_waitcnt vmcnt(0)
	global_atomic_cmpswap_x2 v[4:5], v0, v[4:7], s[2:3] offset:24 sc0 sc1
	s_waitcnt vmcnt(0)
	buffer_inv sc0 sc1
	v_cmp_eq_u64_e32 vcc, v[4:5], v[6:7]
	s_or_b64 s[8:9], vcc, s[8:9]
	s_andn2_b64 exec, exec, s[8:9]
	s_cbranch_execnz .LBB8_28
; %bb.29:
	s_or_b64 exec, exec, s[8:9]
.LBB8_30:
	s_or_b64 exec, exec, s[6:7]
.LBB8_31:
	s_or_b64 exec, exec, s[4:5]
	v_mov_b32_e32 v27, 0
	s_waitcnt lgkmcnt(0)
	global_load_dwordx2 v[6:7], v27, s[2:3] offset:40
	global_load_dwordx4 v[0:3], v27, s[2:3]
	v_readfirstlane_b32 s5, v5
	v_readfirstlane_b32 s4, v4
	s_mov_b64 s[6:7], exec
	s_waitcnt vmcnt(1)
	v_readfirstlane_b32 s8, v6
	v_readfirstlane_b32 s9, v7
	s_and_b64 s[8:9], s[8:9], s[4:5]
	s_mul_i32 s10, s9, 24
	s_mul_hi_u32 s11, s8, 24
	s_add_i32 s11, s11, s10
	s_mul_i32 s10, s8, 24
	s_waitcnt vmcnt(0)
	v_lshl_add_u64 v[4:5], v[0:1], 0, s[10:11]
	s_and_saveexec_b64 s[10:11], s[0:1]
	s_cbranch_execz .LBB8_33
; %bb.32:
	v_mov_b64_e32 v[6:7], s[6:7]
	v_mov_b32_e32 v8, 2
	v_mov_b32_e32 v9, 1
	global_store_dwordx4 v[4:5], v[6:9], off offset:8
.LBB8_33:
	s_or_b64 exec, exec, s[10:11]
	s_lshl_b64 s[6:7], s[8:9], 12
	v_lshl_add_u64 v[6:7], v[2:3], 0, s[6:7]
	s_mov_b32 s8, 0
	v_lshlrev_b32_e32 v26, 6, v32
	v_mov_b32_e32 v8, 33
	v_mov_b32_e32 v9, v27
	;; [unrolled: 1-line block ×4, first 2 shown]
	v_readfirstlane_b32 s6, v6
	v_readfirstlane_b32 s7, v7
	s_mov_b32 s9, s8
	s_mov_b32 s10, s8
	;; [unrolled: 1-line block ×3, first 2 shown]
	s_nop 1
	global_store_dwordx4 v26, v[8:11], s[6:7]
	s_nop 1
	v_mov_b64_e32 v[8:9], s[8:9]
	v_mov_b64_e32 v[10:11], s[10:11]
	global_store_dwordx4 v26, v[8:11], s[6:7] offset:16
	global_store_dwordx4 v26, v[8:11], s[6:7] offset:32
	;; [unrolled: 1-line block ×3, first 2 shown]
	s_and_saveexec_b64 s[6:7], s[0:1]
	s_cbranch_execz .LBB8_41
; %bb.34:
	v_mov_b32_e32 v10, 0
	global_load_dwordx2 v[14:15], v10, s[2:3] offset:32 sc0 sc1
	global_load_dwordx2 v[2:3], v10, s[2:3] offset:40
	v_mov_b32_e32 v12, s4
	v_mov_b32_e32 v13, s5
	s_waitcnt vmcnt(0)
	v_and_b32_e32 v2, s4, v2
	v_and_b32_e32 v3, s5, v3
	v_mul_lo_u32 v3, v3, 24
	v_mul_hi_u32 v8, v2, 24
	v_mul_lo_u32 v2, v2, 24
	v_add_u32_e32 v3, v8, v3
	v_lshl_add_u64 v[8:9], v[0:1], 0, v[2:3]
	global_store_dwordx2 v[8:9], v[14:15], off
	buffer_wbl2 sc0 sc1
	s_waitcnt vmcnt(0)
	global_atomic_cmpswap_x2 v[2:3], v10, v[12:15], s[2:3] offset:32 sc0 sc1
	s_waitcnt vmcnt(0)
	v_cmp_ne_u64_e32 vcc, v[2:3], v[14:15]
	s_and_saveexec_b64 s[8:9], vcc
	s_cbranch_execz .LBB8_37
; %bb.35:
	s_mov_b64 s[10:11], 0
.LBB8_36:                               ; =>This Inner Loop Header: Depth=1
	s_sleep 1
	global_store_dwordx2 v[8:9], v[2:3], off
	v_mov_b32_e32 v0, s4
	v_mov_b32_e32 v1, s5
	buffer_wbl2 sc0 sc1
	s_waitcnt vmcnt(0)
	global_atomic_cmpswap_x2 v[0:1], v10, v[0:3], s[2:3] offset:32 sc0 sc1
	s_waitcnt vmcnt(0)
	v_cmp_eq_u64_e32 vcc, v[0:1], v[2:3]
	s_or_b64 s[10:11], vcc, s[10:11]
	v_mov_b64_e32 v[2:3], v[0:1]
	s_andn2_b64 exec, exec, s[10:11]
	s_cbranch_execnz .LBB8_36
.LBB8_37:
	s_or_b64 exec, exec, s[8:9]
	v_mov_b32_e32 v3, 0
	global_load_dwordx2 v[0:1], v3, s[2:3] offset:16
	s_mov_b64 s[8:9], exec
	v_mbcnt_lo_u32_b32 v2, s8, 0
	v_mbcnt_hi_u32_b32 v2, s9, v2
	v_cmp_eq_u32_e32 vcc, 0, v2
	s_and_saveexec_b64 s[10:11], vcc
	s_cbranch_execz .LBB8_39
; %bb.38:
	s_bcnt1_i32_b64 s8, s[8:9]
	v_mov_b32_e32 v2, s8
	buffer_wbl2 sc0 sc1
	s_waitcnt vmcnt(0)
	global_atomic_add_x2 v[0:1], v[2:3], off offset:8 sc1
.LBB8_39:
	s_or_b64 exec, exec, s[10:11]
	s_waitcnt vmcnt(0)
	global_load_dwordx2 v[2:3], v[0:1], off offset:16
	s_waitcnt vmcnt(0)
	v_cmp_eq_u64_e32 vcc, 0, v[2:3]
	s_cbranch_vccnz .LBB8_41
; %bb.40:
	global_load_dword v0, v[0:1], off offset:24
	v_mov_b32_e32 v1, 0
	s_waitcnt vmcnt(0)
	v_readfirstlane_b32 s8, v0
	s_and_b32 m0, s8, 0xffffff
	buffer_wbl2 sc0 sc1
	global_store_dwordx2 v[2:3], v[0:1], off sc0 sc1
	s_sendmsg sendmsg(MSG_INTERRUPT)
.LBB8_41:
	s_or_b64 exec, exec, s[6:7]
	v_lshl_add_u64 v[0:1], v[6:7], 0, v[26:27]
	s_branch .LBB8_45
.LBB8_42:                               ;   in Loop: Header=BB8_45 Depth=1
	s_or_b64 exec, exec, s[6:7]
	v_readfirstlane_b32 s6, v2
	s_cmp_eq_u32 s6, 0
	s_cbranch_scc1 .LBB8_44
; %bb.43:                               ;   in Loop: Header=BB8_45 Depth=1
	s_sleep 1
	s_cbranch_execnz .LBB8_45
	s_branch .LBB8_47
.LBB8_44:
	s_branch .LBB8_47
.LBB8_45:                               ; =>This Inner Loop Header: Depth=1
	v_mov_b32_e32 v2, 1
	s_and_saveexec_b64 s[6:7], s[0:1]
	s_cbranch_execz .LBB8_42
; %bb.46:                               ;   in Loop: Header=BB8_45 Depth=1
	global_load_dword v2, v[4:5], off offset:20 sc0 sc1
	s_waitcnt vmcnt(0)
	buffer_inv sc0 sc1
	v_and_b32_e32 v2, 1, v2
	s_branch .LBB8_42
.LBB8_47:
	global_load_dwordx2 v[0:1], v[0:1], off
	s_and_saveexec_b64 s[6:7], s[0:1]
	s_cbranch_execz .LBB8_50
; %bb.48:
	v_mov_b32_e32 v8, 0
	global_load_dwordx2 v[2:3], v8, s[2:3] offset:40
	global_load_dwordx2 v[12:13], v8, s[2:3] offset:24 sc0 sc1
	global_load_dwordx2 v[4:5], v8, s[2:3]
	s_waitcnt vmcnt(2)
	v_readfirstlane_b32 s8, v2
	v_readfirstlane_b32 s9, v3
	s_add_u32 s10, s8, 1
	s_addc_u32 s11, s9, 0
	s_add_u32 s0, s10, s4
	s_addc_u32 s1, s11, s5
	s_cmp_eq_u64 s[0:1], 0
	s_cselect_b32 s1, s11, s1
	s_cselect_b32 s0, s10, s0
	s_and_b64 s[4:5], s[0:1], s[8:9]
	s_mul_i32 s5, s5, 24
	s_mul_hi_u32 s8, s4, 24
	s_mul_i32 s4, s4, 24
	s_add_i32 s5, s8, s5
	s_waitcnt vmcnt(0)
	v_lshl_add_u64 v[6:7], v[4:5], 0, s[4:5]
	v_mov_b32_e32 v10, s0
	global_store_dwordx2 v[6:7], v[12:13], off
	v_mov_b32_e32 v11, s1
	buffer_wbl2 sc0 sc1
	s_waitcnt vmcnt(0)
	global_atomic_cmpswap_x2 v[4:5], v8, v[10:13], s[2:3] offset:24 sc0 sc1
	s_mov_b64 s[4:5], 0
	s_waitcnt vmcnt(0)
	v_cmp_ne_u64_e32 vcc, v[4:5], v[12:13]
	s_and_b64 exec, exec, vcc
	s_cbranch_execz .LBB8_50
.LBB8_49:                               ; =>This Inner Loop Header: Depth=1
	s_sleep 1
	global_store_dwordx2 v[6:7], v[4:5], off
	v_mov_b32_e32 v2, s0
	v_mov_b32_e32 v3, s1
	buffer_wbl2 sc0 sc1
	s_waitcnt vmcnt(0)
	global_atomic_cmpswap_x2 v[2:3], v8, v[2:5], s[2:3] offset:24 sc0 sc1
	s_waitcnt vmcnt(0)
	v_cmp_eq_u64_e32 vcc, v[2:3], v[4:5]
	s_or_b64 s[4:5], vcc, s[4:5]
	v_mov_b64_e32 v[4:5], v[2:3]
	s_andn2_b64 exec, exec, s[4:5]
	s_cbranch_execnz .LBB8_49
.LBB8_50:
	s_or_b64 exec, exec, s[6:7]
	s_getpc_b64 s[4:5]
	s_add_u32 s4, s4, .str.28@rel32@lo+4
	s_addc_u32 s5, s5, .str.28@rel32@hi+12
	s_cmp_lg_u64 s[4:5], 0
	s_cbranch_scc0 .LBB8_136
; %bb.51:
	s_waitcnt vmcnt(0)
	v_and_b32_e32 v6, -3, v0
	v_mov_b32_e32 v7, v1
	s_mov_b64 s[6:7], 35
	v_mov_b32_e32 v29, 0
	v_mov_b32_e32 v4, 2
	;; [unrolled: 1-line block ×3, first 2 shown]
	s_branch .LBB8_53
.LBB8_52:                               ;   in Loop: Header=BB8_53 Depth=1
	s_or_b64 exec, exec, s[12:13]
	s_sub_u32 s6, s6, s8
	s_subb_u32 s7, s7, s9
	s_add_u32 s4, s4, s8
	s_addc_u32 s5, s5, s9
	s_cmp_lg_u64 s[6:7], 0
	s_cbranch_scc0 .LBB8_135
.LBB8_53:                               ; =>This Loop Header: Depth=1
                                        ;     Child Loop BB8_56 Depth 2
                                        ;     Child Loop BB8_64 Depth 2
                                        ;     Child Loop BB8_72 Depth 2
                                        ;     Child Loop BB8_80 Depth 2
                                        ;     Child Loop BB8_88 Depth 2
                                        ;     Child Loop BB8_96 Depth 2
                                        ;     Child Loop BB8_104 Depth 2
                                        ;     Child Loop BB8_112 Depth 2
                                        ;     Child Loop BB8_120 Depth 2
                                        ;     Child Loop BB8_129 Depth 2
                                        ;     Child Loop BB8_134 Depth 2
	v_cmp_lt_u64_e64 s[0:1], s[6:7], 56
	s_and_b64 s[0:1], s[0:1], exec
	s_cselect_b32 s9, s7, 0
	s_cselect_b32 s8, s6, 56
	v_cmp_gt_u64_e64 s[10:11], s[6:7], 7
	s_add_u32 s0, s4, 8
	s_addc_u32 s1, s5, 0
	s_and_b64 vcc, exec, s[10:11]
	s_cbranch_vccnz .LBB8_57
; %bb.54:                               ;   in Loop: Header=BB8_53 Depth=1
	s_cmp_eq_u64 s[6:7], 0
	s_cbranch_scc1 .LBB8_58
; %bb.55:                               ;   in Loop: Header=BB8_53 Depth=1
	s_lshl_b64 s[0:1], s[8:9], 3
	s_mov_b64 s[10:11], 0
	s_waitcnt vmcnt(0)
	v_mov_b64_e32 v[8:9], 0
	s_mov_b64 s[12:13], s[4:5]
.LBB8_56:                               ;   Parent Loop BB8_53 Depth=1
                                        ; =>  This Inner Loop Header: Depth=2
	global_load_ubyte v2, v29, s[12:13]
	s_waitcnt vmcnt(0)
	v_and_b32_e32 v28, 0xffff, v2
	v_lshlrev_b64 v[2:3], s10, v[28:29]
	s_add_u32 s10, s10, 8
	s_addc_u32 s11, s11, 0
	s_add_u32 s12, s12, 1
	s_addc_u32 s13, s13, 0
	v_or_b32_e32 v8, v2, v8
	s_cmp_lg_u32 s0, s10
	v_or_b32_e32 v9, v3, v9
	s_cbranch_scc1 .LBB8_56
	s_branch .LBB8_59
.LBB8_57:                               ;   in Loop: Header=BB8_53 Depth=1
	s_mov_b32 s14, 0
	s_branch .LBB8_60
.LBB8_58:                               ;   in Loop: Header=BB8_53 Depth=1
	s_waitcnt vmcnt(0)
	v_mov_b64_e32 v[8:9], 0
.LBB8_59:                               ;   in Loop: Header=BB8_53 Depth=1
	s_mov_b64 s[0:1], s[4:5]
	s_mov_b32 s14, 0
	s_cbranch_execnz .LBB8_61
.LBB8_60:                               ;   in Loop: Header=BB8_53 Depth=1
	global_load_dwordx2 v[8:9], v29, s[4:5]
	s_add_i32 s14, s8, -8
.LBB8_61:                               ;   in Loop: Header=BB8_53 Depth=1
	s_add_u32 s10, s0, 8
	s_addc_u32 s11, s1, 0
	s_cmp_gt_u32 s14, 7
	s_cbranch_scc1 .LBB8_65
; %bb.62:                               ;   in Loop: Header=BB8_53 Depth=1
	s_cmp_eq_u32 s14, 0
	s_cbranch_scc1 .LBB8_66
; %bb.63:                               ;   in Loop: Header=BB8_53 Depth=1
	s_mov_b64 s[10:11], 0
	v_mov_b64_e32 v[10:11], 0
	s_mov_b64 s[12:13], 0
.LBB8_64:                               ;   Parent Loop BB8_53 Depth=1
                                        ; =>  This Inner Loop Header: Depth=2
	s_add_u32 s16, s0, s12
	s_addc_u32 s17, s1, s13
	global_load_ubyte v2, v29, s[16:17]
	s_add_u32 s12, s12, 1
	s_addc_u32 s13, s13, 0
	s_waitcnt vmcnt(0)
	v_and_b32_e32 v28, 0xffff, v2
	v_lshlrev_b64 v[2:3], s10, v[28:29]
	s_add_u32 s10, s10, 8
	s_addc_u32 s11, s11, 0
	v_or_b32_e32 v10, v2, v10
	s_cmp_lg_u32 s14, s12
	v_or_b32_e32 v11, v3, v11
	s_cbranch_scc1 .LBB8_64
	s_branch .LBB8_67
.LBB8_65:                               ;   in Loop: Header=BB8_53 Depth=1
                                        ; implicit-def: $vgpr10_vgpr11
	s_mov_b32 s15, 0
	s_branch .LBB8_68
.LBB8_66:                               ;   in Loop: Header=BB8_53 Depth=1
	v_mov_b64_e32 v[10:11], 0
.LBB8_67:                               ;   in Loop: Header=BB8_53 Depth=1
	s_mov_b64 s[10:11], s[0:1]
	s_mov_b32 s15, 0
	s_cbranch_execnz .LBB8_69
.LBB8_68:                               ;   in Loop: Header=BB8_53 Depth=1
	global_load_dwordx2 v[10:11], v29, s[0:1]
	s_add_i32 s15, s14, -8
.LBB8_69:                               ;   in Loop: Header=BB8_53 Depth=1
	s_add_u32 s0, s10, 8
	s_addc_u32 s1, s11, 0
	s_cmp_gt_u32 s15, 7
	s_cbranch_scc1 .LBB8_73
; %bb.70:                               ;   in Loop: Header=BB8_53 Depth=1
	s_cmp_eq_u32 s15, 0
	s_cbranch_scc1 .LBB8_74
; %bb.71:                               ;   in Loop: Header=BB8_53 Depth=1
	s_mov_b64 s[0:1], 0
	v_mov_b64_e32 v[12:13], 0
	s_mov_b64 s[12:13], 0
.LBB8_72:                               ;   Parent Loop BB8_53 Depth=1
                                        ; =>  This Inner Loop Header: Depth=2
	s_add_u32 s16, s10, s12
	s_addc_u32 s17, s11, s13
	global_load_ubyte v2, v29, s[16:17]
	s_add_u32 s12, s12, 1
	s_addc_u32 s13, s13, 0
	s_waitcnt vmcnt(0)
	v_and_b32_e32 v28, 0xffff, v2
	v_lshlrev_b64 v[2:3], s0, v[28:29]
	s_add_u32 s0, s0, 8
	s_addc_u32 s1, s1, 0
	v_or_b32_e32 v12, v2, v12
	s_cmp_lg_u32 s15, s12
	v_or_b32_e32 v13, v3, v13
	s_cbranch_scc1 .LBB8_72
	s_branch .LBB8_75
.LBB8_73:                               ;   in Loop: Header=BB8_53 Depth=1
	s_mov_b32 s14, 0
	s_branch .LBB8_76
.LBB8_74:                               ;   in Loop: Header=BB8_53 Depth=1
	v_mov_b64_e32 v[12:13], 0
.LBB8_75:                               ;   in Loop: Header=BB8_53 Depth=1
	s_mov_b64 s[0:1], s[10:11]
	s_mov_b32 s14, 0
	s_cbranch_execnz .LBB8_77
.LBB8_76:                               ;   in Loop: Header=BB8_53 Depth=1
	global_load_dwordx2 v[12:13], v29, s[10:11]
	s_add_i32 s14, s15, -8
.LBB8_77:                               ;   in Loop: Header=BB8_53 Depth=1
	s_add_u32 s10, s0, 8
	s_addc_u32 s11, s1, 0
	s_cmp_gt_u32 s14, 7
	s_cbranch_scc1 .LBB8_81
; %bb.78:                               ;   in Loop: Header=BB8_53 Depth=1
	s_cmp_eq_u32 s14, 0
	s_cbranch_scc1 .LBB8_82
; %bb.79:                               ;   in Loop: Header=BB8_53 Depth=1
	s_mov_b64 s[10:11], 0
	v_mov_b64_e32 v[14:15], 0
	s_mov_b64 s[12:13], 0
.LBB8_80:                               ;   Parent Loop BB8_53 Depth=1
                                        ; =>  This Inner Loop Header: Depth=2
	s_add_u32 s16, s0, s12
	s_addc_u32 s17, s1, s13
	global_load_ubyte v2, v29, s[16:17]
	s_add_u32 s12, s12, 1
	s_addc_u32 s13, s13, 0
	s_waitcnt vmcnt(0)
	v_and_b32_e32 v28, 0xffff, v2
	v_lshlrev_b64 v[2:3], s10, v[28:29]
	s_add_u32 s10, s10, 8
	s_addc_u32 s11, s11, 0
	v_or_b32_e32 v14, v2, v14
	s_cmp_lg_u32 s14, s12
	v_or_b32_e32 v15, v3, v15
	s_cbranch_scc1 .LBB8_80
	s_branch .LBB8_83
.LBB8_81:                               ;   in Loop: Header=BB8_53 Depth=1
                                        ; implicit-def: $vgpr14_vgpr15
	s_mov_b32 s15, 0
	s_branch .LBB8_84
.LBB8_82:                               ;   in Loop: Header=BB8_53 Depth=1
	v_mov_b64_e32 v[14:15], 0
.LBB8_83:                               ;   in Loop: Header=BB8_53 Depth=1
	s_mov_b64 s[10:11], s[0:1]
	s_mov_b32 s15, 0
	s_cbranch_execnz .LBB8_85
.LBB8_84:                               ;   in Loop: Header=BB8_53 Depth=1
	global_load_dwordx2 v[14:15], v29, s[0:1]
	s_add_i32 s15, s14, -8
.LBB8_85:                               ;   in Loop: Header=BB8_53 Depth=1
	s_add_u32 s0, s10, 8
	s_addc_u32 s1, s11, 0
	s_cmp_gt_u32 s15, 7
	s_cbranch_scc1 .LBB8_89
; %bb.86:                               ;   in Loop: Header=BB8_53 Depth=1
	s_cmp_eq_u32 s15, 0
	s_cbranch_scc1 .LBB8_90
; %bb.87:                               ;   in Loop: Header=BB8_53 Depth=1
	s_mov_b64 s[0:1], 0
	v_mov_b64_e32 v[16:17], 0
	s_mov_b64 s[12:13], 0
.LBB8_88:                               ;   Parent Loop BB8_53 Depth=1
                                        ; =>  This Inner Loop Header: Depth=2
	s_add_u32 s16, s10, s12
	s_addc_u32 s17, s11, s13
	global_load_ubyte v2, v29, s[16:17]
	s_add_u32 s12, s12, 1
	s_addc_u32 s13, s13, 0
	s_waitcnt vmcnt(0)
	v_and_b32_e32 v28, 0xffff, v2
	v_lshlrev_b64 v[2:3], s0, v[28:29]
	s_add_u32 s0, s0, 8
	s_addc_u32 s1, s1, 0
	v_or_b32_e32 v16, v2, v16
	s_cmp_lg_u32 s15, s12
	v_or_b32_e32 v17, v3, v17
	s_cbranch_scc1 .LBB8_88
	s_branch .LBB8_91
.LBB8_89:                               ;   in Loop: Header=BB8_53 Depth=1
	s_mov_b32 s14, 0
	s_branch .LBB8_92
.LBB8_90:                               ;   in Loop: Header=BB8_53 Depth=1
	v_mov_b64_e32 v[16:17], 0
.LBB8_91:                               ;   in Loop: Header=BB8_53 Depth=1
	s_mov_b64 s[0:1], s[10:11]
	s_mov_b32 s14, 0
	s_cbranch_execnz .LBB8_93
.LBB8_92:                               ;   in Loop: Header=BB8_53 Depth=1
	global_load_dwordx2 v[16:17], v29, s[10:11]
	s_add_i32 s14, s15, -8
.LBB8_93:                               ;   in Loop: Header=BB8_53 Depth=1
	s_add_u32 s10, s0, 8
	s_addc_u32 s11, s1, 0
	s_cmp_gt_u32 s14, 7
	s_cbranch_scc1 .LBB8_97
; %bb.94:                               ;   in Loop: Header=BB8_53 Depth=1
	s_cmp_eq_u32 s14, 0
	s_cbranch_scc1 .LBB8_98
; %bb.95:                               ;   in Loop: Header=BB8_53 Depth=1
	s_mov_b64 s[10:11], 0
	v_mov_b64_e32 v[18:19], 0
	s_mov_b64 s[12:13], 0
.LBB8_96:                               ;   Parent Loop BB8_53 Depth=1
                                        ; =>  This Inner Loop Header: Depth=2
	s_add_u32 s16, s0, s12
	s_addc_u32 s17, s1, s13
	global_load_ubyte v2, v29, s[16:17]
	s_add_u32 s12, s12, 1
	s_addc_u32 s13, s13, 0
	s_waitcnt vmcnt(0)
	v_and_b32_e32 v28, 0xffff, v2
	v_lshlrev_b64 v[2:3], s10, v[28:29]
	s_add_u32 s10, s10, 8
	s_addc_u32 s11, s11, 0
	v_or_b32_e32 v18, v2, v18
	s_cmp_lg_u32 s14, s12
	v_or_b32_e32 v19, v3, v19
	s_cbranch_scc1 .LBB8_96
	s_branch .LBB8_99
.LBB8_97:                               ;   in Loop: Header=BB8_53 Depth=1
                                        ; implicit-def: $vgpr18_vgpr19
	s_mov_b32 s15, 0
	s_branch .LBB8_100
.LBB8_98:                               ;   in Loop: Header=BB8_53 Depth=1
	v_mov_b64_e32 v[18:19], 0
.LBB8_99:                               ;   in Loop: Header=BB8_53 Depth=1
	s_mov_b64 s[10:11], s[0:1]
	s_mov_b32 s15, 0
	s_cbranch_execnz .LBB8_101
.LBB8_100:                              ;   in Loop: Header=BB8_53 Depth=1
	global_load_dwordx2 v[18:19], v29, s[0:1]
	s_add_i32 s15, s14, -8
.LBB8_101:                              ;   in Loop: Header=BB8_53 Depth=1
	s_cmp_gt_u32 s15, 7
	s_cbranch_scc1 .LBB8_105
; %bb.102:                              ;   in Loop: Header=BB8_53 Depth=1
	s_cmp_eq_u32 s15, 0
	s_cbranch_scc1 .LBB8_106
; %bb.103:                              ;   in Loop: Header=BB8_53 Depth=1
	s_mov_b64 s[0:1], 0
	v_mov_b64_e32 v[20:21], 0
	s_mov_b64 s[12:13], s[10:11]
.LBB8_104:                              ;   Parent Loop BB8_53 Depth=1
                                        ; =>  This Inner Loop Header: Depth=2
	global_load_ubyte v2, v29, s[12:13]
	s_add_i32 s15, s15, -1
	s_waitcnt vmcnt(0)
	v_and_b32_e32 v28, 0xffff, v2
	v_lshlrev_b64 v[2:3], s0, v[28:29]
	s_add_u32 s0, s0, 8
	s_addc_u32 s1, s1, 0
	s_add_u32 s12, s12, 1
	s_addc_u32 s13, s13, 0
	v_or_b32_e32 v20, v2, v20
	s_cmp_lg_u32 s15, 0
	v_or_b32_e32 v21, v3, v21
	s_cbranch_scc1 .LBB8_104
	s_branch .LBB8_107
.LBB8_105:                              ;   in Loop: Header=BB8_53 Depth=1
	s_branch .LBB8_108
.LBB8_106:                              ;   in Loop: Header=BB8_53 Depth=1
	v_mov_b64_e32 v[20:21], 0
.LBB8_107:                              ;   in Loop: Header=BB8_53 Depth=1
	s_cbranch_execnz .LBB8_109
.LBB8_108:                              ;   in Loop: Header=BB8_53 Depth=1
	global_load_dwordx2 v[20:21], v29, s[10:11]
.LBB8_109:                              ;   in Loop: Header=BB8_53 Depth=1
	v_readfirstlane_b32 s0, v32
	v_mov_b64_e32 v[2:3], 0
	s_nop 0
	v_cmp_eq_u32_e64 s[0:1], s0, v32
	s_and_saveexec_b64 s[10:11], s[0:1]
	s_cbranch_execz .LBB8_115
; %bb.110:                              ;   in Loop: Header=BB8_53 Depth=1
	global_load_dwordx2 v[24:25], v29, s[2:3] offset:24 sc0 sc1
	s_waitcnt vmcnt(0)
	buffer_inv sc0 sc1
	global_load_dwordx2 v[2:3], v29, s[2:3] offset:40
	global_load_dwordx2 v[22:23], v29, s[2:3]
	s_waitcnt vmcnt(1)
	v_and_b32_e32 v2, v2, v24
	v_and_b32_e32 v3, v3, v25
	v_mul_lo_u32 v3, v3, 24
	v_mul_hi_u32 v27, v2, 24
	v_add_u32_e32 v3, v27, v3
	v_mul_lo_u32 v2, v2, 24
	s_waitcnt vmcnt(0)
	v_lshl_add_u64 v[2:3], v[22:23], 0, v[2:3]
	global_load_dwordx2 v[22:23], v[2:3], off sc0 sc1
	s_waitcnt vmcnt(0)
	global_atomic_cmpswap_x2 v[2:3], v29, v[22:25], s[2:3] offset:24 sc0 sc1
	s_waitcnt vmcnt(0)
	buffer_inv sc0 sc1
	v_cmp_ne_u64_e32 vcc, v[2:3], v[24:25]
	s_and_saveexec_b64 s[12:13], vcc
	s_cbranch_execz .LBB8_114
; %bb.111:                              ;   in Loop: Header=BB8_53 Depth=1
	s_mov_b64 s[14:15], 0
.LBB8_112:                              ;   Parent Loop BB8_53 Depth=1
                                        ; =>  This Inner Loop Header: Depth=2
	s_sleep 1
	global_load_dwordx2 v[22:23], v29, s[2:3] offset:40
	global_load_dwordx2 v[30:31], v29, s[2:3]
	v_mov_b64_e32 v[24:25], v[2:3]
	s_waitcnt vmcnt(1)
	v_and_b32_e32 v2, v22, v24
	s_waitcnt vmcnt(0)
	v_mad_u64_u32 v[2:3], s[16:17], v2, 24, v[30:31]
	v_and_b32_e32 v23, v23, v25
	v_mov_b32_e32 v22, v3
	v_mad_u64_u32 v[22:23], s[16:17], v23, 24, v[22:23]
	v_mov_b32_e32 v3, v22
	global_load_dwordx2 v[22:23], v[2:3], off sc0 sc1
	s_waitcnt vmcnt(0)
	global_atomic_cmpswap_x2 v[2:3], v29, v[22:25], s[2:3] offset:24 sc0 sc1
	s_waitcnt vmcnt(0)
	buffer_inv sc0 sc1
	v_cmp_eq_u64_e32 vcc, v[2:3], v[24:25]
	s_or_b64 s[14:15], vcc, s[14:15]
	s_andn2_b64 exec, exec, s[14:15]
	s_cbranch_execnz .LBB8_112
; %bb.113:                              ;   in Loop: Header=BB8_53 Depth=1
	s_or_b64 exec, exec, s[14:15]
.LBB8_114:                              ;   in Loop: Header=BB8_53 Depth=1
	s_or_b64 exec, exec, s[12:13]
.LBB8_115:                              ;   in Loop: Header=BB8_53 Depth=1
	s_or_b64 exec, exec, s[10:11]
	global_load_dwordx2 v[30:31], v29, s[2:3] offset:40
	global_load_dwordx4 v[22:25], v29, s[2:3]
	v_readfirstlane_b32 s11, v3
	v_readfirstlane_b32 s10, v2
	s_mov_b64 s[12:13], exec
	s_waitcnt vmcnt(1)
	v_readfirstlane_b32 s14, v30
	v_readfirstlane_b32 s15, v31
	s_and_b64 s[14:15], s[14:15], s[10:11]
	s_mul_i32 s16, s15, 24
	s_mul_hi_u32 s17, s14, 24
	s_add_i32 s17, s17, s16
	s_mul_i32 s16, s14, 24
	s_waitcnt vmcnt(0)
	v_lshl_add_u64 v[30:31], v[22:23], 0, s[16:17]
	s_and_saveexec_b64 s[16:17], s[0:1]
	s_cbranch_execz .LBB8_117
; %bb.116:                              ;   in Loop: Header=BB8_53 Depth=1
	v_mov_b64_e32 v[2:3], s[12:13]
	global_store_dwordx4 v[30:31], v[2:5], off offset:8
.LBB8_117:                              ;   in Loop: Header=BB8_53 Depth=1
	s_or_b64 exec, exec, s[16:17]
	s_lshl_b64 s[12:13], s[14:15], 12
	v_lshl_add_u64 v[2:3], v[24:25], 0, s[12:13]
	v_cmp_gt_u64_e64 s[12:13], s[6:7], 56
	s_and_b64 s[12:13], s[12:13], exec
	s_cselect_b32 s12, 0, 2
	s_lshl_b32 s13, s8, 2
	s_add_i32 s13, s13, 28
	v_and_b32_e32 v6, 0xffffff1f, v6
	s_and_b32 s13, s13, 0x1e0
	v_or_b32_e32 v6, s12, v6
	v_or_b32_e32 v6, s13, v6
	v_readfirstlane_b32 s12, v2
	v_readfirstlane_b32 s13, v3
	s_nop 4
	global_store_dwordx4 v26, v[6:9], s[12:13]
	global_store_dwordx4 v26, v[10:13], s[12:13] offset:16
	global_store_dwordx4 v26, v[14:17], s[12:13] offset:32
	;; [unrolled: 1-line block ×3, first 2 shown]
	s_and_saveexec_b64 s[12:13], s[0:1]
	s_cbranch_execz .LBB8_125
; %bb.118:                              ;   in Loop: Header=BB8_53 Depth=1
	global_load_dwordx2 v[14:15], v29, s[2:3] offset:32 sc0 sc1
	global_load_dwordx2 v[6:7], v29, s[2:3] offset:40
	v_mov_b32_e32 v12, s10
	v_mov_b32_e32 v13, s11
	s_waitcnt vmcnt(0)
	v_readfirstlane_b32 s14, v6
	v_readfirstlane_b32 s15, v7
	s_and_b64 s[14:15], s[14:15], s[10:11]
	s_mul_i32 s15, s15, 24
	s_mul_hi_u32 s16, s14, 24
	s_mul_i32 s14, s14, 24
	s_add_i32 s15, s16, s15
	v_lshl_add_u64 v[10:11], v[22:23], 0, s[14:15]
	global_store_dwordx2 v[10:11], v[14:15], off
	buffer_wbl2 sc0 sc1
	s_waitcnt vmcnt(0)
	global_atomic_cmpswap_x2 v[8:9], v29, v[12:15], s[2:3] offset:32 sc0 sc1
	s_waitcnt vmcnt(0)
	v_cmp_ne_u64_e32 vcc, v[8:9], v[14:15]
	s_and_saveexec_b64 s[14:15], vcc
	s_cbranch_execz .LBB8_121
; %bb.119:                              ;   in Loop: Header=BB8_53 Depth=1
	s_mov_b64 s[16:17], 0
.LBB8_120:                              ;   Parent Loop BB8_53 Depth=1
                                        ; =>  This Inner Loop Header: Depth=2
	s_sleep 1
	global_store_dwordx2 v[10:11], v[8:9], off
	v_mov_b32_e32 v6, s10
	v_mov_b32_e32 v7, s11
	buffer_wbl2 sc0 sc1
	s_waitcnt vmcnt(0)
	global_atomic_cmpswap_x2 v[6:7], v29, v[6:9], s[2:3] offset:32 sc0 sc1
	s_waitcnt vmcnt(0)
	v_cmp_eq_u64_e32 vcc, v[6:7], v[8:9]
	s_or_b64 s[16:17], vcc, s[16:17]
	v_mov_b64_e32 v[8:9], v[6:7]
	s_andn2_b64 exec, exec, s[16:17]
	s_cbranch_execnz .LBB8_120
.LBB8_121:                              ;   in Loop: Header=BB8_53 Depth=1
	s_or_b64 exec, exec, s[14:15]
	global_load_dwordx2 v[6:7], v29, s[2:3] offset:16
	s_mov_b64 s[16:17], exec
	v_mbcnt_lo_u32_b32 v8, s16, 0
	v_mbcnt_hi_u32_b32 v8, s17, v8
	v_cmp_eq_u32_e32 vcc, 0, v8
	s_and_saveexec_b64 s[14:15], vcc
	s_cbranch_execz .LBB8_123
; %bb.122:                              ;   in Loop: Header=BB8_53 Depth=1
	s_bcnt1_i32_b64 s16, s[16:17]
	v_mov_b32_e32 v28, s16
	buffer_wbl2 sc0 sc1
	s_waitcnt vmcnt(0)
	global_atomic_add_x2 v[6:7], v[28:29], off offset:8 sc1
.LBB8_123:                              ;   in Loop: Header=BB8_53 Depth=1
	s_or_b64 exec, exec, s[14:15]
	s_waitcnt vmcnt(0)
	global_load_dwordx2 v[8:9], v[6:7], off offset:16
	s_waitcnt vmcnt(0)
	v_cmp_eq_u64_e32 vcc, 0, v[8:9]
	s_cbranch_vccnz .LBB8_125
; %bb.124:                              ;   in Loop: Header=BB8_53 Depth=1
	global_load_dword v28, v[6:7], off offset:24
	s_waitcnt vmcnt(0)
	v_readfirstlane_b32 s14, v28
	s_and_b32 m0, s14, 0xffffff
	buffer_wbl2 sc0 sc1
	global_store_dwordx2 v[8:9], v[28:29], off sc0 sc1
	s_sendmsg sendmsg(MSG_INTERRUPT)
.LBB8_125:                              ;   in Loop: Header=BB8_53 Depth=1
	s_or_b64 exec, exec, s[12:13]
	v_mov_b32_e32 v27, v29
	v_lshl_add_u64 v[2:3], v[2:3], 0, v[26:27]
	s_branch .LBB8_129
.LBB8_126:                              ;   in Loop: Header=BB8_129 Depth=2
	s_or_b64 exec, exec, s[12:13]
	v_readfirstlane_b32 s12, v6
	s_cmp_eq_u32 s12, 0
	s_cbranch_scc1 .LBB8_128
; %bb.127:                              ;   in Loop: Header=BB8_129 Depth=2
	s_sleep 1
	s_cbranch_execnz .LBB8_129
	s_branch .LBB8_131
.LBB8_128:                              ;   in Loop: Header=BB8_53 Depth=1
	s_branch .LBB8_131
.LBB8_129:                              ;   Parent Loop BB8_53 Depth=1
                                        ; =>  This Inner Loop Header: Depth=2
	v_mov_b32_e32 v6, 1
	s_and_saveexec_b64 s[12:13], s[0:1]
	s_cbranch_execz .LBB8_126
; %bb.130:                              ;   in Loop: Header=BB8_129 Depth=2
	global_load_dword v6, v[30:31], off offset:20 sc0 sc1
	s_waitcnt vmcnt(0)
	buffer_inv sc0 sc1
	v_and_b32_e32 v6, 1, v6
	s_branch .LBB8_126
.LBB8_131:                              ;   in Loop: Header=BB8_53 Depth=1
	global_load_dwordx4 v[6:9], v[2:3], off
	s_and_saveexec_b64 s[12:13], s[0:1]
	s_cbranch_execz .LBB8_52
; %bb.132:                              ;   in Loop: Header=BB8_53 Depth=1
	global_load_dwordx2 v[2:3], v29, s[2:3] offset:40
	global_load_dwordx2 v[12:13], v29, s[2:3] offset:24 sc0 sc1
	global_load_dwordx2 v[8:9], v29, s[2:3]
	s_waitcnt vmcnt(2)
	v_readfirstlane_b32 s14, v2
	v_readfirstlane_b32 s15, v3
	s_add_u32 s16, s14, 1
	s_addc_u32 s17, s15, 0
	s_add_u32 s0, s16, s10
	s_addc_u32 s1, s17, s11
	s_cmp_eq_u64 s[0:1], 0
	s_cselect_b32 s1, s17, s1
	s_cselect_b32 s0, s16, s0
	s_and_b64 s[10:11], s[0:1], s[14:15]
	s_mul_i32 s11, s11, 24
	s_mul_hi_u32 s14, s10, 24
	s_mul_i32 s10, s10, 24
	s_add_i32 s11, s14, s11
	s_waitcnt vmcnt(0)
	v_lshl_add_u64 v[2:3], v[8:9], 0, s[10:11]
	v_mov_b32_e32 v10, s0
	global_store_dwordx2 v[2:3], v[12:13], off
	v_mov_b32_e32 v11, s1
	buffer_wbl2 sc0 sc1
	s_waitcnt vmcnt(0)
	global_atomic_cmpswap_x2 v[10:11], v29, v[10:13], s[2:3] offset:24 sc0 sc1
	s_waitcnt vmcnt(0)
	v_cmp_ne_u64_e32 vcc, v[10:11], v[12:13]
	s_and_b64 exec, exec, vcc
	s_cbranch_execz .LBB8_52
; %bb.133:                              ;   in Loop: Header=BB8_53 Depth=1
	s_mov_b64 s[10:11], 0
.LBB8_134:                              ;   Parent Loop BB8_53 Depth=1
                                        ; =>  This Inner Loop Header: Depth=2
	s_sleep 1
	global_store_dwordx2 v[2:3], v[10:11], off
	v_mov_b32_e32 v8, s0
	v_mov_b32_e32 v9, s1
	buffer_wbl2 sc0 sc1
	s_waitcnt vmcnt(0)
	global_atomic_cmpswap_x2 v[8:9], v29, v[8:11], s[2:3] offset:24 sc0 sc1
	s_waitcnt vmcnt(0)
	v_cmp_eq_u64_e32 vcc, v[8:9], v[10:11]
	s_or_b64 s[10:11], vcc, s[10:11]
	v_mov_b64_e32 v[10:11], v[8:9]
	s_andn2_b64 exec, exec, s[10:11]
	s_cbranch_execnz .LBB8_134
	s_branch .LBB8_52
.LBB8_135:
	s_mov_b64 s[0:1], 0
	s_branch .LBB8_137
.LBB8_136:
	s_mov_b64 s[0:1], -1
.LBB8_137:
	s_and_b64 vcc, exec, s[0:1]
	s_cbranch_vccz .LBB8_164
; %bb.138:
	v_readfirstlane_b32 s0, v32
	s_waitcnt vmcnt(0)
	v_mov_b64_e32 v[8:9], 0
	v_cmp_eq_u32_e64 s[0:1], s0, v32
	s_and_saveexec_b64 s[4:5], s[0:1]
	s_cbranch_execz .LBB8_144
; %bb.139:
	v_mov_b32_e32 v2, 0
	global_load_dwordx2 v[6:7], v2, s[2:3] offset:24 sc0 sc1
	s_waitcnt vmcnt(0)
	buffer_inv sc0 sc1
	global_load_dwordx2 v[4:5], v2, s[2:3] offset:40
	global_load_dwordx2 v[8:9], v2, s[2:3]
	s_waitcnt vmcnt(1)
	v_and_b32_e32 v3, v4, v6
	v_and_b32_e32 v4, v5, v7
	v_mul_lo_u32 v4, v4, 24
	v_mul_hi_u32 v5, v3, 24
	v_add_u32_e32 v5, v5, v4
	v_mul_lo_u32 v4, v3, 24
	s_waitcnt vmcnt(0)
	v_lshl_add_u64 v[4:5], v[8:9], 0, v[4:5]
	global_load_dwordx2 v[4:5], v[4:5], off sc0 sc1
	s_waitcnt vmcnt(0)
	global_atomic_cmpswap_x2 v[8:9], v2, v[4:7], s[2:3] offset:24 sc0 sc1
	s_waitcnt vmcnt(0)
	buffer_inv sc0 sc1
	v_cmp_ne_u64_e32 vcc, v[8:9], v[6:7]
	s_and_saveexec_b64 s[6:7], vcc
	s_cbranch_execz .LBB8_143
; %bb.140:
	s_mov_b64 s[8:9], 0
.LBB8_141:                              ; =>This Inner Loop Header: Depth=1
	s_sleep 1
	global_load_dwordx2 v[4:5], v2, s[2:3] offset:40
	global_load_dwordx2 v[10:11], v2, s[2:3]
	v_mov_b64_e32 v[6:7], v[8:9]
	s_waitcnt vmcnt(1)
	v_and_b32_e32 v4, v4, v6
	v_and_b32_e32 v3, v5, v7
	s_waitcnt vmcnt(0)
	v_mad_u64_u32 v[4:5], s[10:11], v4, 24, v[10:11]
	v_mov_b32_e32 v8, v5
	v_mad_u64_u32 v[8:9], s[10:11], v3, 24, v[8:9]
	v_mov_b32_e32 v5, v8
	global_load_dwordx2 v[4:5], v[4:5], off sc0 sc1
	s_waitcnt vmcnt(0)
	global_atomic_cmpswap_x2 v[8:9], v2, v[4:7], s[2:3] offset:24 sc0 sc1
	s_waitcnt vmcnt(0)
	buffer_inv sc0 sc1
	v_cmp_eq_u64_e32 vcc, v[8:9], v[6:7]
	s_or_b64 s[8:9], vcc, s[8:9]
	s_andn2_b64 exec, exec, s[8:9]
	s_cbranch_execnz .LBB8_141
; %bb.142:
	s_or_b64 exec, exec, s[8:9]
.LBB8_143:
	s_or_b64 exec, exec, s[6:7]
.LBB8_144:
	s_or_b64 exec, exec, s[4:5]
	v_mov_b32_e32 v2, 0
	global_load_dwordx2 v[10:11], v2, s[2:3] offset:40
	global_load_dwordx4 v[4:7], v2, s[2:3]
	v_readfirstlane_b32 s5, v9
	v_readfirstlane_b32 s4, v8
	s_mov_b64 s[6:7], exec
	s_waitcnt vmcnt(1)
	v_readfirstlane_b32 s8, v10
	v_readfirstlane_b32 s9, v11
	s_and_b64 s[8:9], s[8:9], s[4:5]
	s_mul_i32 s10, s9, 24
	s_mul_hi_u32 s11, s8, 24
	s_add_i32 s11, s11, s10
	s_mul_i32 s10, s8, 24
	s_waitcnt vmcnt(0)
	v_lshl_add_u64 v[8:9], v[4:5], 0, s[10:11]
	s_and_saveexec_b64 s[10:11], s[0:1]
	s_cbranch_execz .LBB8_146
; %bb.145:
	v_mov_b64_e32 v[10:11], s[6:7]
	v_mov_b32_e32 v12, 2
	v_mov_b32_e32 v13, 1
	global_store_dwordx4 v[8:9], v[10:13], off offset:8
.LBB8_146:
	s_or_b64 exec, exec, s[10:11]
	s_lshl_b64 s[6:7], s[8:9], 12
	v_lshl_add_u64 v[6:7], v[6:7], 0, s[6:7]
	s_movk_i32 s6, 0xff1d
	s_mov_b32 s8, 0
	v_and_or_b32 v0, v0, s6, 34
	v_mov_b32_e32 v3, v2
	v_readfirstlane_b32 s6, v6
	v_readfirstlane_b32 s7, v7
	s_mov_b32 s9, s8
	s_mov_b32 s10, s8
	;; [unrolled: 1-line block ×3, first 2 shown]
	s_nop 1
	global_store_dwordx4 v26, v[0:3], s[6:7]
	s_nop 1
	v_mov_b64_e32 v[0:1], s[8:9]
	v_mov_b64_e32 v[2:3], s[10:11]
	global_store_dwordx4 v26, v[0:3], s[6:7] offset:16
	global_store_dwordx4 v26, v[0:3], s[6:7] offset:32
	;; [unrolled: 1-line block ×3, first 2 shown]
	s_and_saveexec_b64 s[6:7], s[0:1]
	s_cbranch_execz .LBB8_154
; %bb.147:
	v_mov_b32_e32 v6, 0
	global_load_dwordx2 v[12:13], v6, s[2:3] offset:32 sc0 sc1
	global_load_dwordx2 v[0:1], v6, s[2:3] offset:40
	v_mov_b32_e32 v10, s4
	v_mov_b32_e32 v11, s5
	s_waitcnt vmcnt(0)
	v_readfirstlane_b32 s8, v0
	v_readfirstlane_b32 s9, v1
	s_and_b64 s[8:9], s[8:9], s[4:5]
	s_mul_i32 s9, s9, 24
	s_mul_hi_u32 s10, s8, 24
	s_mul_i32 s8, s8, 24
	s_add_i32 s9, s10, s9
	v_lshl_add_u64 v[4:5], v[4:5], 0, s[8:9]
	global_store_dwordx2 v[4:5], v[12:13], off
	buffer_wbl2 sc0 sc1
	s_waitcnt vmcnt(0)
	global_atomic_cmpswap_x2 v[2:3], v6, v[10:13], s[2:3] offset:32 sc0 sc1
	s_waitcnt vmcnt(0)
	v_cmp_ne_u64_e32 vcc, v[2:3], v[12:13]
	s_and_saveexec_b64 s[8:9], vcc
	s_cbranch_execz .LBB8_150
; %bb.148:
	s_mov_b64 s[10:11], 0
.LBB8_149:                              ; =>This Inner Loop Header: Depth=1
	s_sleep 1
	global_store_dwordx2 v[4:5], v[2:3], off
	v_mov_b32_e32 v0, s4
	v_mov_b32_e32 v1, s5
	buffer_wbl2 sc0 sc1
	s_waitcnt vmcnt(0)
	global_atomic_cmpswap_x2 v[0:1], v6, v[0:3], s[2:3] offset:32 sc0 sc1
	s_waitcnt vmcnt(0)
	v_cmp_eq_u64_e32 vcc, v[0:1], v[2:3]
	s_or_b64 s[10:11], vcc, s[10:11]
	v_mov_b64_e32 v[2:3], v[0:1]
	s_andn2_b64 exec, exec, s[10:11]
	s_cbranch_execnz .LBB8_149
.LBB8_150:
	s_or_b64 exec, exec, s[8:9]
	v_mov_b32_e32 v3, 0
	global_load_dwordx2 v[0:1], v3, s[2:3] offset:16
	s_mov_b64 s[8:9], exec
	v_mbcnt_lo_u32_b32 v2, s8, 0
	v_mbcnt_hi_u32_b32 v2, s9, v2
	v_cmp_eq_u32_e32 vcc, 0, v2
	s_and_saveexec_b64 s[10:11], vcc
	s_cbranch_execz .LBB8_152
; %bb.151:
	s_bcnt1_i32_b64 s8, s[8:9]
	v_mov_b32_e32 v2, s8
	buffer_wbl2 sc0 sc1
	s_waitcnt vmcnt(0)
	global_atomic_add_x2 v[0:1], v[2:3], off offset:8 sc1
.LBB8_152:
	s_or_b64 exec, exec, s[10:11]
	s_waitcnt vmcnt(0)
	global_load_dwordx2 v[2:3], v[0:1], off offset:16
	s_waitcnt vmcnt(0)
	v_cmp_eq_u64_e32 vcc, 0, v[2:3]
	s_cbranch_vccnz .LBB8_154
; %bb.153:
	global_load_dword v0, v[0:1], off offset:24
	v_mov_b32_e32 v1, 0
	s_waitcnt vmcnt(0)
	v_readfirstlane_b32 s8, v0
	s_and_b32 m0, s8, 0xffffff
	buffer_wbl2 sc0 sc1
	global_store_dwordx2 v[2:3], v[0:1], off sc0 sc1
	s_sendmsg sendmsg(MSG_INTERRUPT)
.LBB8_154:
	s_or_b64 exec, exec, s[6:7]
	s_branch .LBB8_158
.LBB8_155:                              ;   in Loop: Header=BB8_158 Depth=1
	s_or_b64 exec, exec, s[6:7]
	v_readfirstlane_b32 s6, v0
	s_cmp_eq_u32 s6, 0
	s_cbranch_scc1 .LBB8_157
; %bb.156:                              ;   in Loop: Header=BB8_158 Depth=1
	s_sleep 1
	s_cbranch_execnz .LBB8_158
	s_branch .LBB8_160
.LBB8_157:
	s_branch .LBB8_160
.LBB8_158:                              ; =>This Inner Loop Header: Depth=1
	v_mov_b32_e32 v0, 1
	s_and_saveexec_b64 s[6:7], s[0:1]
	s_cbranch_execz .LBB8_155
; %bb.159:                              ;   in Loop: Header=BB8_158 Depth=1
	global_load_dword v0, v[8:9], off offset:20 sc0 sc1
	s_waitcnt vmcnt(0)
	buffer_inv sc0 sc1
	v_and_b32_e32 v0, 1, v0
	s_branch .LBB8_155
.LBB8_160:
	s_and_saveexec_b64 s[6:7], s[0:1]
	s_cbranch_execz .LBB8_163
; %bb.161:
	v_mov_b32_e32 v6, 0
	global_load_dwordx2 v[0:1], v6, s[2:3] offset:40
	global_load_dwordx2 v[10:11], v6, s[2:3] offset:24 sc0 sc1
	global_load_dwordx2 v[2:3], v6, s[2:3]
	s_waitcnt vmcnt(2)
	v_readfirstlane_b32 s8, v0
	v_readfirstlane_b32 s9, v1
	s_add_u32 s10, s8, 1
	s_addc_u32 s11, s9, 0
	s_add_u32 s0, s10, s4
	s_addc_u32 s1, s11, s5
	s_cmp_eq_u64 s[0:1], 0
	s_cselect_b32 s1, s11, s1
	s_cselect_b32 s0, s10, s0
	s_and_b64 s[4:5], s[0:1], s[8:9]
	s_mul_i32 s5, s5, 24
	s_mul_hi_u32 s8, s4, 24
	s_mul_i32 s4, s4, 24
	s_add_i32 s5, s8, s5
	s_waitcnt vmcnt(0)
	v_lshl_add_u64 v[4:5], v[2:3], 0, s[4:5]
	v_mov_b32_e32 v8, s0
	global_store_dwordx2 v[4:5], v[10:11], off
	v_mov_b32_e32 v9, s1
	buffer_wbl2 sc0 sc1
	s_waitcnt vmcnt(0)
	global_atomic_cmpswap_x2 v[2:3], v6, v[8:11], s[2:3] offset:24 sc0 sc1
	s_mov_b64 s[4:5], 0
	s_waitcnt vmcnt(0)
	v_cmp_ne_u64_e32 vcc, v[2:3], v[10:11]
	s_and_b64 exec, exec, vcc
	s_cbranch_execz .LBB8_163
.LBB8_162:                              ; =>This Inner Loop Header: Depth=1
	s_sleep 1
	global_store_dwordx2 v[4:5], v[2:3], off
	v_mov_b32_e32 v0, s0
	v_mov_b32_e32 v1, s1
	buffer_wbl2 sc0 sc1
	s_waitcnt vmcnt(0)
	global_atomic_cmpswap_x2 v[0:1], v6, v[0:3], s[2:3] offset:24 sc0 sc1
	s_waitcnt vmcnt(0)
	v_cmp_eq_u64_e32 vcc, v[0:1], v[2:3]
	s_or_b64 s[4:5], vcc, s[4:5]
	v_mov_b64_e32 v[2:3], v[0:1]
	s_andn2_b64 exec, exec, s[4:5]
	s_cbranch_execnz .LBB8_162
.LBB8_163:
	s_or_b64 exec, exec, s[6:7]
.LBB8_164:
	s_add_u32 s8, s40, 0x58
	s_addc_u32 s9, s41, 0
	s_getpc_b64 s[0:1]
	s_add_u32 s0, s0, .str.29@rel32@lo+4
	s_addc_u32 s1, s1, .str.29@rel32@hi+12
	s_getpc_b64 s[2:3]
	s_add_u32 s2, s2, .str.19@rel32@lo+4
	s_addc_u32 s3, s3, .str.19@rel32@hi+12
	s_getpc_b64 s[4:5]
	s_add_u32 s4, s4, __PRETTY_FUNCTION__._ZN7VecsMemIjLi8192EE5fetchEi@rel32@lo+4
	s_addc_u32 s5, s5, __PRETTY_FUNCTION__._ZN7VecsMemIjLi8192EE5fetchEi@rel32@hi+12
	s_getpc_b64 s[6:7]
	s_add_u32 s6, s6, __assert_fail@rel32@lo+4
	s_addc_u32 s7, s7, __assert_fail@rel32@hi+12
	s_waitcnt vmcnt(0)
	v_mov_b32_e32 v0, s0
	v_mov_b32_e32 v1, s1
	;; [unrolled: 1-line block ×7, first 2 shown]
	s_swappc_b64 s[30:31], s[6:7]
	s_or_b64 s[0:1], s[72:73], exec
.LBB8_165:
	s_or_b64 exec, exec, s[34:35]
	s_andn2_b64 s[2:3], s[72:73], exec
	s_and_b64 s[0:1], s[0:1], exec
	s_or_b64 s[34:35], s[2:3], s[0:1]
	s_orn2_b64 s[0:1], s[28:29], exec
.LBB8_166:
	s_or_b64 exec, exec, s[26:27]
	s_mov_b64 s[2:3], 0
	s_and_saveexec_b64 s[26:27], s[0:1]
	s_cbranch_execz .LBB8_179
; %bb.167:
	v_cmp_ne_u32_e32 vcc, -1, v44
	s_mov_b64 s[36:37], 0
	s_mov_b64 s[38:39], s[34:35]
	s_and_saveexec_b64 s[0:1], vcc
	s_xor_b64 s[28:29], exec, s[0:1]
	s_cbranch_execz .LBB8_176
; %bb.168:
	v_cmp_lt_i32_e32 vcc, 0, v43
	s_and_saveexec_b64 s[0:1], vcc
	s_cbranch_execz .LBB8_173
; %bb.169:
	scratch_load_dwordx2 v[0:1], off, off offset:16
	v_mov_b32_e32 v2, v43
	v_mov_b32_e32 v3, v44
.LBB8_170:                              ; =>This Inner Loop Header: Depth=1
	s_waitcnt vmcnt(0)
	flat_load_dword v4, v[0:1]
	v_add_u32_e32 v2, -1, v2
	v_cmp_eq_u32_e32 vcc, 0, v2
	v_lshl_add_u64 v[0:1], v[0:1], 0, 4
	s_or_b64 s[2:3], vcc, s[2:3]
	s_waitcnt vmcnt(0) lgkmcnt(0)
	scratch_store_dword v3, v4, off
	v_add_u32_e32 v3, 4, v3
	s_andn2_b64 exec, exec, s[2:3]
	s_cbranch_execnz .LBB8_170
; %bb.171:
	s_or_b64 exec, exec, s[2:3]
	s_mov_b32 s4, 28
	s_mov_b64 s[2:3], 0
	v_mov_b32_e32 v0, v43
.LBB8_172:                              ; =>This Inner Loop Header: Depth=1
	scratch_load_dword v1, v44, off
	v_add_u32_e32 v0, -1, v0
	v_cmp_eq_u32_e32 vcc, 0, v0
	v_add_u32_e32 v44, 4, v44
	s_waitcnt vmcnt(0)
	scratch_store_dword off, v1, s4
	s_add_i32 s4, s4, 4
	s_or_b64 s[2:3], vcc, s[2:3]
	s_andn2_b64 exec, exec, s[2:3]
	s_cbranch_execnz .LBB8_172
.LBB8_173:
	s_or_b64 exec, exec, s[0:1]
	scratch_load_dword v0, off, off offset:24
	s_mov_b64 s[0:1], -1
	s_mov_b64 s[2:3], s[34:35]
	s_waitcnt vmcnt(0)
	v_cmp_lt_i32_e32 vcc, v0, v43
	s_and_saveexec_b64 s[4:5], vcc
	s_xor_b64 s[36:37], exec, s[4:5]
	s_cbranch_execz .LBB8_175
; %bb.174:
	s_add_u32 s8, s40, 0x58
	s_addc_u32 s9, s41, 0
	s_getpc_b64 s[0:1]
	s_add_u32 s0, s0, .str.18@rel32@lo+4
	s_addc_u32 s1, s1, .str.18@rel32@hi+12
	s_getpc_b64 s[2:3]
	s_add_u32 s2, s2, .str.19@rel32@lo+4
	s_addc_u32 s3, s3, .str.19@rel32@hi+12
	s_getpc_b64 s[4:5]
	s_add_u32 s4, s4, __PRETTY_FUNCTION__._ZN7VecsMemIjLi8192EE6shrinkEi@rel32@lo+4
	s_addc_u32 s5, s5, __PRETTY_FUNCTION__._ZN7VecsMemIjLi8192EE6shrinkEi@rel32@hi+12
	s_getpc_b64 s[6:7]
	s_add_u32 s6, s6, __assert_fail@rel32@lo+4
	s_addc_u32 s7, s7, __assert_fail@rel32@hi+12
	v_mov_b32_e32 v0, s0
	v_mov_b32_e32 v1, s1
	;; [unrolled: 1-line block ×7, first 2 shown]
	s_swappc_b64 s[30:31], s[6:7]
	s_or_b64 s[2:3], s[34:35], exec
	s_xor_b64 s[0:1], exec, -1
.LBB8_175:
	s_or_b64 exec, exec, s[36:37]
	s_andn2_b64 s[4:5], s[34:35], exec
	s_and_b64 s[2:3], s[2:3], exec
	s_or_b64 s[38:39], s[4:5], s[2:3]
	s_and_b64 s[36:37], s[0:1], exec
.LBB8_176:
	s_andn2_saveexec_b64 s[28:29], s[28:29]
	s_cbranch_execz .LBB8_178
; %bb.177:
	s_add_u32 s8, s40, 0x58
	s_addc_u32 s9, s41, 0
	s_getpc_b64 s[0:1]
	s_add_u32 s0, s0, .str.17@rel32@lo+4
	s_addc_u32 s1, s1, .str.17@rel32@hi+12
	s_getpc_b64 s[2:3]
	s_add_u32 s2, s2, .str.16@rel32@lo+4
	s_addc_u32 s3, s3, .str.16@rel32@hi+12
	s_getpc_b64 s[4:5]
	s_add_u32 s4, s4, __PRETTY_FUNCTION__._ZN3sop10minatoIsopEPKjiP7VecsMemIjLi8192EE@rel32@lo+4
	s_addc_u32 s5, s5, __PRETTY_FUNCTION__._ZN3sop10minatoIsopEPKjiP7VecsMemIjLi8192EE@rel32@hi+12
	s_getpc_b64 s[6:7]
	s_add_u32 s6, s6, __assert_fail@rel32@lo+4
	s_addc_u32 s7, s7, __assert_fail@rel32@hi+12
	v_mov_b32_e32 v0, s0
	v_mov_b32_e32 v1, s1
	;; [unrolled: 1-line block ×7, first 2 shown]
	s_swappc_b64 s[30:31], s[6:7]
	s_or_b64 s[38:39], s[38:39], exec
.LBB8_178:
	s_or_b64 exec, exec, s[28:29]
	s_andn2_b64 s[0:1], s[34:35], exec
	s_and_b64 s[2:3], s[38:39], exec
	s_or_b64 s[34:35], s[0:1], s[2:3]
	s_and_b64 s[2:3], s[36:37], exec
.LBB8_179:
	s_or_b64 exec, exec, s[26:27]
	s_andn2_b64 s[0:1], s[72:73], exec
	s_and_b64 s[4:5], s[34:35], exec
	s_or_b64 s[64:65], s[0:1], s[4:5]
	s_and_b64 s[0:1], s[2:3], exec
	s_andn2_b64 s[22:23], s[22:23], exec
.LBB8_180:
	s_or_b64 exec, exec, s[24:25]
	s_and_saveexec_b64 s[2:3], s[22:23]
	s_cbranch_execz .LBB8_182
; %bb.181:
	scratch_load_dword v0, off, off offset:24
	s_andn2_b64 s[0:1], s[0:1], exec
	s_mov_b64 s[62:63], exec
	v_mov_b32_e32 v1, 0
	scratch_store_dword off, v1, off offset:28
	s_waitcnt vmcnt(1)
	v_cmp_ge_i32_e32 vcc, v0, v43
	s_and_b64 s[4:5], vcc, exec
	s_or_b64 s[0:1], s[0:1], s[4:5]
.LBB8_182:
	s_or_b64 exec, exec, s[2:3]
	s_mov_b64 s[2:3], 0
	s_mov_b64 s[4:5], 0
	;; [unrolled: 1-line block ×3, first 2 shown]
	s_and_saveexec_b64 s[66:67], s[0:1]
	s_cbranch_execz .LBB8_412
; %bb.183:
	v_cmp_lt_i32_e32 vcc, 15, v41
	s_mov_b64 s[68:69], s[64:65]
	scratch_store_dword off, v43, off offset:24
	s_barrier
	s_and_saveexec_b64 s[0:1], vcc
	s_xor_b64 s[22:23], exec, s[0:1]
	s_cbranch_execz .LBB8_185
; %bb.184:
	s_add_u32 s8, s40, 0x58
	s_addc_u32 s9, s41, 0
	s_getpc_b64 s[0:1]
	s_add_u32 s0, s0, .str.30@rel32@lo+4
	s_addc_u32 s1, s1, .str.30@rel32@hi+12
	s_getpc_b64 s[2:3]
	s_add_u32 s2, s2, .str.31@rel32@lo+4
	s_addc_u32 s3, s3, .str.31@rel32@hi+12
	s_getpc_b64 s[4:5]
	s_add_u32 s4, s4, __PRETTY_FUNCTION__._ZN3sop9sopFactorEPjiiPKiiP7VecsMemIjLi8192EEPN8subgUtil4SubgILi256EEE@rel32@lo+4
	s_addc_u32 s5, s5, __PRETTY_FUNCTION__._ZN3sop9sopFactorEPjiiPKiiP7VecsMemIjLi8192EEPN8subgUtil4SubgILi256EEE@rel32@hi+12
	s_getpc_b64 s[6:7]
	s_add_u32 s6, s6, __assert_fail@rel32@lo+4
	s_addc_u32 s7, s7, __assert_fail@rel32@hi+12
	v_mov_b32_e32 v0, s0
	v_mov_b32_e32 v1, s1
	;; [unrolled: 1-line block ×7, first 2 shown]
	s_swappc_b64 s[30:31], s[6:7]
	s_or_b64 s[68:69], s[64:65], exec
                                        ; implicit-def: $vgpr90
                                        ; implicit-def: $vgpr41
                                        ; implicit-def: $vgpr62
                                        ; implicit-def: $vgpr42
.LBB8_185:
	s_or_saveexec_b64 s[70:71], s[22:23]
	s_mov_b64 s[0:1], 0
	s_mov_b64 s[2:3], 0
	;; [unrolled: 1-line block ×3, first 2 shown]
	s_xor_b64 exec, exec, s[70:71]
	s_cbranch_execz .LBB8_411
; %bb.186:
	scratch_load_dword v43, off, off offset:24
	s_mov_b32 s0, 0x8020
	scratch_store_dword off, v41, s0
	s_mov_b64 s[44:45], 0
	s_mov_b64 s[0:1], 0
	;; [unrolled: 1-line block ×3, first 2 shown]
	s_waitcnt vmcnt(1)
	v_cmp_lt_i32_e32 vcc, 0, v43
	s_and_saveexec_b64 s[2:3], vcc
	s_xor_b64 s[2:3], exec, s[2:3]
	s_cbranch_execnz .LBB8_190
; %bb.187:
	s_andn2_saveexec_b64 s[2:3], s[2:3]
	s_cbranch_execnz .LBB8_199
.LBB8_188:
	s_or_b64 exec, exec, s[2:3]
	s_mov_b64 s[22:23], s[68:69]
	s_and_saveexec_b64 s[48:49], s[0:1]
	s_cbranch_execnz .LBB8_200
.LBB8_189:
	s_or_b64 exec, exec, s[48:49]
	s_and_saveexec_b64 s[0:1], s[44:45]
	s_cbranch_execnz .LBB8_377
	s_branch .LBB8_382
.LBB8_190:
	v_cmp_eq_u32_e32 vcc, 1, v43
	s_mov_b64 s[0:1], -1
	s_mov_b64 s[6:7], 0
	s_and_saveexec_b64 s[4:5], vcc
	s_cbranch_execz .LBB8_198
; %bb.191:
	scratch_load_dword v0, off, off offset:28
	s_waitcnt vmcnt(0)
	v_cmp_ne_u32_e32 vcc, 0, v0
	v_cmp_eq_u32_e64 s[0:1], 0, v0
	s_and_saveexec_b64 s[8:9], s[0:1]
	s_xor_b64 s[0:1], exec, s[8:9]
	s_cbranch_execz .LBB8_197
; %bb.192:
	v_add_u32_e32 v0, 1, v41
	s_mov_b32 s6, 0x8020
	scratch_store_dword off, v0, s6
	v_mov_b32_e32 v0, 0x8020
	v_lshl_add_u32 v0, v41, 3, v0
	v_add_u32_e32 v0, 8, v0
	s_mov_b64 s[6:7], exec
	v_readlane_b32 s8, v46, 2
	v_readlane_b32 s9, v46, 3
	s_and_b64 s[8:9], s[6:7], s[8:9]
	s_xor_b64 s[6:7], s[8:9], s[6:7]
	s_mov_b64 exec, s[8:9]
	s_cbranch_execz .LBB8_194
; %bb.193:
	v_mov_b32_e32 v2, 0
	v_mov_b32_e32 v3, v2
	scratch_store_dwordx2 v0, v[2:3], off
                                        ; implicit-def: $vgpr0
.LBB8_194:
	s_andn2_saveexec_b64 s[6:7], s[6:7]
	s_cbranch_execz .LBB8_196
; %bb.195:
	v_mov_b32_e32 v2, 3
	v_mov_b32_e32 v3, 1
	scratch_store_dwordx2 v0, v[2:3], off
.LBB8_196:
	s_or_b64 exec, exec, s[6:7]
	s_mov_b64 s[6:7], exec
.LBB8_197:
	s_or_b64 exec, exec, s[0:1]
	s_and_b64 s[6:7], s[6:7], exec
	s_orn2_b64 s[0:1], vcc, exec
.LBB8_198:
	s_or_b64 exec, exec, s[4:5]
	s_and_b64 s[98:99], s[6:7], exec
	s_and_b64 s[0:1], s[0:1], exec
	s_andn2_saveexec_b64 s[2:3], s[2:3]
	s_cbranch_execz .LBB8_188
.LBB8_199:
	v_cmp_ne_u32_e32 vcc, 0, v43
	s_andn2_b64 s[0:1], s[0:1], exec
	s_and_b64 s[4:5], vcc, exec
	s_mov_b64 s[44:45], exec
	s_or_b64 s[0:1], s[0:1], s[4:5]
	s_or_b64 exec, exec, s[2:3]
	s_mov_b64 s[22:23], s[68:69]
	s_and_saveexec_b64 s[48:49], s[0:1]
	s_cbranch_execz .LBB8_189
.LBB8_200:
	v_mov_b32_e32 v0, 0
	v_cmp_lt_i32_e32 vcc, 0, v43
	s_mov_b64 s[0:1], -1
	v_mov_b32_e32 v44, -1
	s_mov_b64 s[6:7], s[68:69]
	scratch_store_dword off, v0, off offset:12
	s_and_saveexec_b64 s[22:23], vcc
	s_cbranch_execz .LBB8_352
; %bb.201:
	s_movk_i32 s0, 0x1001
	v_cmp_gt_u32_e32 vcc, s0, v43
	s_mov_b64 s[24:25], 0
	v_mov_b32_e32 v44, -1
	s_and_saveexec_b64 s[0:1], vcc
	s_xor_b64 s[0:1], exec, s[0:1]
	s_cbranch_execz .LBB8_203
; %bb.202:
	v_lshlrev_b32_e32 v0, 1, v43
	scratch_store_dword off, v0, off offset:24
	v_mov_b32_e32 v0, 24
	v_lshl_add_u32 v0, v43, 3, v0
	v_lshlrev_b32_e32 v1, 2, v43
	v_sub_u32_e32 v0, v0, v1
	s_mov_b64 s[24:25], exec
	v_add_u32_e32 v44, 4, v0
.LBB8_203:
	s_or_saveexec_b64 s[26:27], s[0:1]
	s_mov_b64 s[0:1], s[68:69]
	s_xor_b64 exec, exec, s[26:27]
	s_cbranch_execz .LBB8_351
; %bb.204:
	v_readlane_b32 s0, v46, 0
	v_readlane_b32 s1, v46, 1
	s_load_dwordx2 s[2:3], s[0:1], 0x50
	v_mbcnt_lo_u32_b32 v0, -1, 0
	v_mbcnt_hi_u32_b32 v32, -1, v0
	v_mov_b64_e32 v[4:5], 0
	v_readfirstlane_b32 s0, v32
	s_nop 1
	v_cmp_eq_u32_e64 s[0:1], s0, v32
	s_and_saveexec_b64 s[4:5], s[0:1]
	s_cbranch_execz .LBB8_210
; %bb.205:
	v_mov_b32_e32 v0, 0
	s_waitcnt lgkmcnt(0)
	global_load_dwordx2 v[6:7], v0, s[2:3] offset:24 sc0 sc1
	s_waitcnt vmcnt(0)
	buffer_inv sc0 sc1
	global_load_dwordx2 v[2:3], v0, s[2:3] offset:40
	global_load_dwordx2 v[4:5], v0, s[2:3]
	s_waitcnt vmcnt(1)
	v_and_b32_e32 v1, v2, v6
	v_and_b32_e32 v2, v3, v7
	v_mul_lo_u32 v2, v2, 24
	v_mul_hi_u32 v3, v1, 24
	v_add_u32_e32 v3, v3, v2
	v_mul_lo_u32 v2, v1, 24
	s_waitcnt vmcnt(0)
	v_lshl_add_u64 v[2:3], v[4:5], 0, v[2:3]
	global_load_dwordx2 v[4:5], v[2:3], off sc0 sc1
	s_waitcnt vmcnt(0)
	global_atomic_cmpswap_x2 v[4:5], v0, v[4:7], s[2:3] offset:24 sc0 sc1
	s_waitcnt vmcnt(0)
	buffer_inv sc0 sc1
	v_cmp_ne_u64_e32 vcc, v[4:5], v[6:7]
	s_and_saveexec_b64 s[6:7], vcc
	s_cbranch_execz .LBB8_209
; %bb.206:
	s_mov_b64 s[8:9], 0
.LBB8_207:                              ; =>This Inner Loop Header: Depth=1
	s_sleep 1
	global_load_dwordx2 v[2:3], v0, s[2:3] offset:40
	global_load_dwordx2 v[8:9], v0, s[2:3]
	v_mov_b64_e32 v[6:7], v[4:5]
	s_waitcnt vmcnt(1)
	v_and_b32_e32 v2, v2, v6
	v_and_b32_e32 v1, v3, v7
	s_waitcnt vmcnt(0)
	v_mad_u64_u32 v[2:3], s[10:11], v2, 24, v[8:9]
	v_mov_b32_e32 v4, v3
	v_mad_u64_u32 v[4:5], s[10:11], v1, 24, v[4:5]
	v_mov_b32_e32 v3, v4
	global_load_dwordx2 v[4:5], v[2:3], off sc0 sc1
	s_waitcnt vmcnt(0)
	global_atomic_cmpswap_x2 v[4:5], v0, v[4:7], s[2:3] offset:24 sc0 sc1
	s_waitcnt vmcnt(0)
	buffer_inv sc0 sc1
	v_cmp_eq_u64_e32 vcc, v[4:5], v[6:7]
	s_or_b64 s[8:9], vcc, s[8:9]
	s_andn2_b64 exec, exec, s[8:9]
	s_cbranch_execnz .LBB8_207
; %bb.208:
	s_or_b64 exec, exec, s[8:9]
.LBB8_209:
	s_or_b64 exec, exec, s[6:7]
.LBB8_210:
	s_or_b64 exec, exec, s[4:5]
	v_mov_b32_e32 v27, 0
	s_waitcnt lgkmcnt(0)
	global_load_dwordx2 v[6:7], v27, s[2:3] offset:40
	global_load_dwordx4 v[0:3], v27, s[2:3]
	v_readfirstlane_b32 s5, v5
	v_readfirstlane_b32 s4, v4
	s_mov_b64 s[6:7], exec
	s_waitcnt vmcnt(1)
	v_readfirstlane_b32 s8, v6
	v_readfirstlane_b32 s9, v7
	s_and_b64 s[8:9], s[8:9], s[4:5]
	s_mul_i32 s10, s9, 24
	s_mul_hi_u32 s11, s8, 24
	s_add_i32 s11, s11, s10
	s_mul_i32 s10, s8, 24
	s_waitcnt vmcnt(0)
	v_lshl_add_u64 v[4:5], v[0:1], 0, s[10:11]
	s_and_saveexec_b64 s[10:11], s[0:1]
	s_cbranch_execz .LBB8_212
; %bb.211:
	v_mov_b64_e32 v[6:7], s[6:7]
	v_mov_b32_e32 v8, 2
	v_mov_b32_e32 v9, 1
	global_store_dwordx4 v[4:5], v[6:9], off offset:8
.LBB8_212:
	s_or_b64 exec, exec, s[10:11]
	s_lshl_b64 s[6:7], s[8:9], 12
	v_lshl_add_u64 v[6:7], v[2:3], 0, s[6:7]
	s_mov_b32 s8, 0
	v_lshlrev_b32_e32 v26, 6, v32
	v_mov_b32_e32 v8, 33
	v_mov_b32_e32 v9, v27
	;; [unrolled: 1-line block ×4, first 2 shown]
	v_readfirstlane_b32 s6, v6
	v_readfirstlane_b32 s7, v7
	s_mov_b32 s9, s8
	s_mov_b32 s10, s8
	;; [unrolled: 1-line block ×3, first 2 shown]
	s_nop 1
	global_store_dwordx4 v26, v[8:11], s[6:7]
	s_nop 1
	v_mov_b64_e32 v[8:9], s[8:9]
	v_mov_b64_e32 v[10:11], s[10:11]
	global_store_dwordx4 v26, v[8:11], s[6:7] offset:16
	global_store_dwordx4 v26, v[8:11], s[6:7] offset:32
	;; [unrolled: 1-line block ×3, first 2 shown]
	s_and_saveexec_b64 s[6:7], s[0:1]
	s_cbranch_execz .LBB8_220
; %bb.213:
	v_mov_b32_e32 v10, 0
	global_load_dwordx2 v[14:15], v10, s[2:3] offset:32 sc0 sc1
	global_load_dwordx2 v[2:3], v10, s[2:3] offset:40
	v_mov_b32_e32 v12, s4
	v_mov_b32_e32 v13, s5
	s_waitcnt vmcnt(0)
	v_and_b32_e32 v2, s4, v2
	v_and_b32_e32 v3, s5, v3
	v_mul_lo_u32 v3, v3, 24
	v_mul_hi_u32 v8, v2, 24
	v_mul_lo_u32 v2, v2, 24
	v_add_u32_e32 v3, v8, v3
	v_lshl_add_u64 v[8:9], v[0:1], 0, v[2:3]
	global_store_dwordx2 v[8:9], v[14:15], off
	buffer_wbl2 sc0 sc1
	s_waitcnt vmcnt(0)
	global_atomic_cmpswap_x2 v[2:3], v10, v[12:15], s[2:3] offset:32 sc0 sc1
	s_waitcnt vmcnt(0)
	v_cmp_ne_u64_e32 vcc, v[2:3], v[14:15]
	s_and_saveexec_b64 s[8:9], vcc
	s_cbranch_execz .LBB8_216
; %bb.214:
	s_mov_b64 s[10:11], 0
.LBB8_215:                              ; =>This Inner Loop Header: Depth=1
	s_sleep 1
	global_store_dwordx2 v[8:9], v[2:3], off
	v_mov_b32_e32 v0, s4
	v_mov_b32_e32 v1, s5
	buffer_wbl2 sc0 sc1
	s_waitcnt vmcnt(0)
	global_atomic_cmpswap_x2 v[0:1], v10, v[0:3], s[2:3] offset:32 sc0 sc1
	s_waitcnt vmcnt(0)
	v_cmp_eq_u64_e32 vcc, v[0:1], v[2:3]
	s_or_b64 s[10:11], vcc, s[10:11]
	v_mov_b64_e32 v[2:3], v[0:1]
	s_andn2_b64 exec, exec, s[10:11]
	s_cbranch_execnz .LBB8_215
.LBB8_216:
	s_or_b64 exec, exec, s[8:9]
	v_mov_b32_e32 v3, 0
	global_load_dwordx2 v[0:1], v3, s[2:3] offset:16
	s_mov_b64 s[8:9], exec
	v_mbcnt_lo_u32_b32 v2, s8, 0
	v_mbcnt_hi_u32_b32 v2, s9, v2
	v_cmp_eq_u32_e32 vcc, 0, v2
	s_and_saveexec_b64 s[10:11], vcc
	s_cbranch_execz .LBB8_218
; %bb.217:
	s_bcnt1_i32_b64 s8, s[8:9]
	v_mov_b32_e32 v2, s8
	buffer_wbl2 sc0 sc1
	s_waitcnt vmcnt(0)
	global_atomic_add_x2 v[0:1], v[2:3], off offset:8 sc1
.LBB8_218:
	s_or_b64 exec, exec, s[10:11]
	s_waitcnt vmcnt(0)
	global_load_dwordx2 v[2:3], v[0:1], off offset:16
	s_waitcnt vmcnt(0)
	v_cmp_eq_u64_e32 vcc, 0, v[2:3]
	s_cbranch_vccnz .LBB8_220
; %bb.219:
	global_load_dword v0, v[0:1], off offset:24
	v_mov_b32_e32 v1, 0
	s_waitcnt vmcnt(0)
	v_readfirstlane_b32 s8, v0
	s_and_b32 m0, s8, 0xffffff
	buffer_wbl2 sc0 sc1
	global_store_dwordx2 v[2:3], v[0:1], off sc0 sc1
	s_sendmsg sendmsg(MSG_INTERRUPT)
.LBB8_220:
	s_or_b64 exec, exec, s[6:7]
	v_lshl_add_u64 v[0:1], v[6:7], 0, v[26:27]
	s_branch .LBB8_224
.LBB8_221:                              ;   in Loop: Header=BB8_224 Depth=1
	s_or_b64 exec, exec, s[6:7]
	v_readfirstlane_b32 s6, v2
	s_cmp_eq_u32 s6, 0
	s_cbranch_scc1 .LBB8_223
; %bb.222:                              ;   in Loop: Header=BB8_224 Depth=1
	s_sleep 1
	s_cbranch_execnz .LBB8_224
	s_branch .LBB8_226
.LBB8_223:
	s_branch .LBB8_226
.LBB8_224:                              ; =>This Inner Loop Header: Depth=1
	v_mov_b32_e32 v2, 1
	s_and_saveexec_b64 s[6:7], s[0:1]
	s_cbranch_execz .LBB8_221
; %bb.225:                              ;   in Loop: Header=BB8_224 Depth=1
	global_load_dword v2, v[4:5], off offset:20 sc0 sc1
	s_waitcnt vmcnt(0)
	buffer_inv sc0 sc1
	v_and_b32_e32 v2, 1, v2
	s_branch .LBB8_221
.LBB8_226:
	global_load_dwordx2 v[0:1], v[0:1], off
	s_and_saveexec_b64 s[6:7], s[0:1]
	s_cbranch_execz .LBB8_229
; %bb.227:
	v_mov_b32_e32 v8, 0
	global_load_dwordx2 v[2:3], v8, s[2:3] offset:40
	global_load_dwordx2 v[12:13], v8, s[2:3] offset:24 sc0 sc1
	global_load_dwordx2 v[4:5], v8, s[2:3]
	s_waitcnt vmcnt(2)
	v_readfirstlane_b32 s8, v2
	v_readfirstlane_b32 s9, v3
	s_add_u32 s10, s8, 1
	s_addc_u32 s11, s9, 0
	s_add_u32 s0, s10, s4
	s_addc_u32 s1, s11, s5
	s_cmp_eq_u64 s[0:1], 0
	s_cselect_b32 s1, s11, s1
	s_cselect_b32 s0, s10, s0
	s_and_b64 s[4:5], s[0:1], s[8:9]
	s_mul_i32 s5, s5, 24
	s_mul_hi_u32 s8, s4, 24
	s_mul_i32 s4, s4, 24
	s_add_i32 s5, s8, s5
	s_waitcnt vmcnt(0)
	v_lshl_add_u64 v[6:7], v[4:5], 0, s[4:5]
	v_mov_b32_e32 v10, s0
	global_store_dwordx2 v[6:7], v[12:13], off
	v_mov_b32_e32 v11, s1
	buffer_wbl2 sc0 sc1
	s_waitcnt vmcnt(0)
	global_atomic_cmpswap_x2 v[4:5], v8, v[10:13], s[2:3] offset:24 sc0 sc1
	s_mov_b64 s[4:5], 0
	s_waitcnt vmcnt(0)
	v_cmp_ne_u64_e32 vcc, v[4:5], v[12:13]
	s_and_b64 exec, exec, vcc
	s_cbranch_execz .LBB8_229
.LBB8_228:                              ; =>This Inner Loop Header: Depth=1
	s_sleep 1
	global_store_dwordx2 v[6:7], v[4:5], off
	v_mov_b32_e32 v2, s0
	v_mov_b32_e32 v3, s1
	buffer_wbl2 sc0 sc1
	s_waitcnt vmcnt(0)
	global_atomic_cmpswap_x2 v[2:3], v8, v[2:5], s[2:3] offset:24 sc0 sc1
	s_waitcnt vmcnt(0)
	v_cmp_eq_u64_e32 vcc, v[2:3], v[4:5]
	s_or_b64 s[4:5], vcc, s[4:5]
	v_mov_b64_e32 v[4:5], v[2:3]
	s_andn2_b64 exec, exec, s[4:5]
	s_cbranch_execnz .LBB8_228
.LBB8_229:
	s_or_b64 exec, exec, s[6:7]
	s_getpc_b64 s[4:5]
	s_add_u32 s4, s4, .str.28@rel32@lo+4
	s_addc_u32 s5, s5, .str.28@rel32@hi+12
	s_cmp_lg_u64 s[4:5], 0
	s_cbranch_scc0 .LBB8_322
; %bb.230:
	s_waitcnt vmcnt(0)
	v_and_b32_e32 v6, -3, v0
	v_mov_b32_e32 v7, v1
	s_mov_b64 s[6:7], 35
	v_mov_b32_e32 v29, 0
	v_mov_b32_e32 v4, 2
	;; [unrolled: 1-line block ×3, first 2 shown]
	s_branch .LBB8_232
.LBB8_231:                              ;   in Loop: Header=BB8_232 Depth=1
	s_or_b64 exec, exec, s[12:13]
	s_sub_u32 s6, s6, s8
	s_subb_u32 s7, s7, s9
	s_add_u32 s4, s4, s8
	s_addc_u32 s5, s5, s9
	s_cmp_lg_u64 s[6:7], 0
	s_cbranch_scc0 .LBB8_321
.LBB8_232:                              ; =>This Loop Header: Depth=1
                                        ;     Child Loop BB8_235 Depth 2
                                        ;     Child Loop BB8_244 Depth 2
	;; [unrolled: 1-line block ×11, first 2 shown]
	v_cmp_lt_u64_e64 s[0:1], s[6:7], 56
	s_and_b64 s[0:1], s[0:1], exec
	s_cselect_b32 s9, s7, 0
	s_cselect_b32 s8, s6, 56
	v_cmp_gt_u64_e64 s[10:11], s[6:7], 7
	s_add_u32 s0, s4, 8
	s_addc_u32 s1, s5, 0
	s_and_b64 vcc, exec, s[10:11]
	s_cbranch_vccnz .LBB8_236
; %bb.233:                              ;   in Loop: Header=BB8_232 Depth=1
	s_cmp_eq_u64 s[6:7], 0
	s_cbranch_scc1 .LBB8_237
; %bb.234:                              ;   in Loop: Header=BB8_232 Depth=1
	s_lshl_b64 s[0:1], s[8:9], 3
	s_mov_b64 s[10:11], 0
	s_waitcnt vmcnt(0)
	v_mov_b64_e32 v[8:9], 0
	s_mov_b64 s[12:13], s[4:5]
.LBB8_235:                              ;   Parent Loop BB8_232 Depth=1
                                        ; =>  This Inner Loop Header: Depth=2
	global_load_ubyte v2, v29, s[12:13]
	s_waitcnt vmcnt(0)
	v_and_b32_e32 v28, 0xffff, v2
	v_lshlrev_b64 v[2:3], s10, v[28:29]
	s_add_u32 s10, s10, 8
	s_addc_u32 s11, s11, 0
	s_add_u32 s12, s12, 1
	s_addc_u32 s13, s13, 0
	v_or_b32_e32 v8, v2, v8
	s_cmp_lg_u32 s0, s10
	v_or_b32_e32 v9, v3, v9
	s_cbranch_scc1 .LBB8_235
	s_branch .LBB8_238
.LBB8_236:                              ;   in Loop: Header=BB8_232 Depth=1
	s_mov_b64 s[10:11], -1
	s_branch .LBB8_239
.LBB8_237:                              ;   in Loop: Header=BB8_232 Depth=1
	s_waitcnt vmcnt(0)
	v_mov_b64_e32 v[8:9], 0
.LBB8_238:                              ;   in Loop: Header=BB8_232 Depth=1
	s_mov_b64 s[10:11], 0
	s_mov_b64 s[0:1], s[4:5]
.LBB8_239:                              ;   in Loop: Header=BB8_232 Depth=1
	s_andn2_b64 vcc, exec, s[10:11]
	s_mov_b32 s14, 0
	s_cbranch_vccnz .LBB8_241
; %bb.240:                              ;   in Loop: Header=BB8_232 Depth=1
	global_load_dwordx2 v[8:9], v29, s[4:5]
	s_add_i32 s14, s8, -8
.LBB8_241:                              ;   in Loop: Header=BB8_232 Depth=1
	s_add_u32 s10, s0, 8
	s_addc_u32 s11, s1, 0
	s_cmp_gt_u32 s14, 7
	s_cbranch_scc1 .LBB8_245
; %bb.242:                              ;   in Loop: Header=BB8_232 Depth=1
	s_cmp_eq_u32 s14, 0
	s_cbranch_scc1 .LBB8_246
; %bb.243:                              ;   in Loop: Header=BB8_232 Depth=1
	s_mov_b64 s[10:11], 0
	v_mov_b64_e32 v[10:11], 0
	s_mov_b64 s[12:13], 0
.LBB8_244:                              ;   Parent Loop BB8_232 Depth=1
                                        ; =>  This Inner Loop Header: Depth=2
	s_add_u32 s16, s0, s12
	s_addc_u32 s17, s1, s13
	global_load_ubyte v2, v29, s[16:17]
	s_add_u32 s12, s12, 1
	s_addc_u32 s13, s13, 0
	s_waitcnt vmcnt(0)
	v_and_b32_e32 v28, 0xffff, v2
	v_lshlrev_b64 v[2:3], s10, v[28:29]
	s_add_u32 s10, s10, 8
	s_addc_u32 s11, s11, 0
	v_or_b32_e32 v10, v2, v10
	s_cmp_lg_u32 s14, s12
	v_or_b32_e32 v11, v3, v11
	s_cbranch_scc1 .LBB8_244
	s_branch .LBB8_247
.LBB8_245:                              ;   in Loop: Header=BB8_232 Depth=1
	s_mov_b64 s[12:13], -1
                                        ; implicit-def: $vgpr10_vgpr11
	s_branch .LBB8_248
.LBB8_246:                              ;   in Loop: Header=BB8_232 Depth=1
	v_mov_b64_e32 v[10:11], 0
.LBB8_247:                              ;   in Loop: Header=BB8_232 Depth=1
	s_mov_b64 s[12:13], 0
	s_mov_b64 s[10:11], s[0:1]
.LBB8_248:                              ;   in Loop: Header=BB8_232 Depth=1
	s_andn2_b64 vcc, exec, s[12:13]
	s_mov_b32 s15, 0
	s_cbranch_vccnz .LBB8_250
; %bb.249:                              ;   in Loop: Header=BB8_232 Depth=1
	global_load_dwordx2 v[10:11], v29, s[0:1]
	s_add_i32 s15, s14, -8
.LBB8_250:                              ;   in Loop: Header=BB8_232 Depth=1
	s_add_u32 s0, s10, 8
	s_addc_u32 s1, s11, 0
	s_cmp_gt_u32 s15, 7
	s_cbranch_scc1 .LBB8_254
; %bb.251:                              ;   in Loop: Header=BB8_232 Depth=1
	s_cmp_eq_u32 s15, 0
	s_cbranch_scc1 .LBB8_255
; %bb.252:                              ;   in Loop: Header=BB8_232 Depth=1
	s_mov_b64 s[0:1], 0
	v_mov_b64_e32 v[12:13], 0
	s_mov_b64 s[12:13], 0
.LBB8_253:                              ;   Parent Loop BB8_232 Depth=1
                                        ; =>  This Inner Loop Header: Depth=2
	s_add_u32 s16, s10, s12
	s_addc_u32 s17, s11, s13
	global_load_ubyte v2, v29, s[16:17]
	s_add_u32 s12, s12, 1
	s_addc_u32 s13, s13, 0
	s_waitcnt vmcnt(0)
	v_and_b32_e32 v28, 0xffff, v2
	v_lshlrev_b64 v[2:3], s0, v[28:29]
	s_add_u32 s0, s0, 8
	s_addc_u32 s1, s1, 0
	v_or_b32_e32 v12, v2, v12
	s_cmp_lg_u32 s15, s12
	v_or_b32_e32 v13, v3, v13
	s_cbranch_scc1 .LBB8_253
	s_branch .LBB8_256
.LBB8_254:                              ;   in Loop: Header=BB8_232 Depth=1
	s_mov_b64 s[12:13], -1
	s_branch .LBB8_257
.LBB8_255:                              ;   in Loop: Header=BB8_232 Depth=1
	v_mov_b64_e32 v[12:13], 0
.LBB8_256:                              ;   in Loop: Header=BB8_232 Depth=1
	s_mov_b64 s[12:13], 0
	s_mov_b64 s[0:1], s[10:11]
.LBB8_257:                              ;   in Loop: Header=BB8_232 Depth=1
	s_andn2_b64 vcc, exec, s[12:13]
	s_mov_b32 s14, 0
	s_cbranch_vccnz .LBB8_259
; %bb.258:                              ;   in Loop: Header=BB8_232 Depth=1
	global_load_dwordx2 v[12:13], v29, s[10:11]
	s_add_i32 s14, s15, -8
.LBB8_259:                              ;   in Loop: Header=BB8_232 Depth=1
	s_add_u32 s10, s0, 8
	s_addc_u32 s11, s1, 0
	s_cmp_gt_u32 s14, 7
	s_cbranch_scc1 .LBB8_263
; %bb.260:                              ;   in Loop: Header=BB8_232 Depth=1
	s_cmp_eq_u32 s14, 0
	s_cbranch_scc1 .LBB8_264
; %bb.261:                              ;   in Loop: Header=BB8_232 Depth=1
	s_mov_b64 s[10:11], 0
	v_mov_b64_e32 v[14:15], 0
	s_mov_b64 s[12:13], 0
.LBB8_262:                              ;   Parent Loop BB8_232 Depth=1
                                        ; =>  This Inner Loop Header: Depth=2
	s_add_u32 s16, s0, s12
	s_addc_u32 s17, s1, s13
	global_load_ubyte v2, v29, s[16:17]
	s_add_u32 s12, s12, 1
	s_addc_u32 s13, s13, 0
	s_waitcnt vmcnt(0)
	v_and_b32_e32 v28, 0xffff, v2
	v_lshlrev_b64 v[2:3], s10, v[28:29]
	s_add_u32 s10, s10, 8
	s_addc_u32 s11, s11, 0
	v_or_b32_e32 v14, v2, v14
	s_cmp_lg_u32 s14, s12
	v_or_b32_e32 v15, v3, v15
	s_cbranch_scc1 .LBB8_262
	s_branch .LBB8_265
.LBB8_263:                              ;   in Loop: Header=BB8_232 Depth=1
	s_mov_b64 s[12:13], -1
                                        ; implicit-def: $vgpr14_vgpr15
	s_branch .LBB8_266
.LBB8_264:                              ;   in Loop: Header=BB8_232 Depth=1
	v_mov_b64_e32 v[14:15], 0
.LBB8_265:                              ;   in Loop: Header=BB8_232 Depth=1
	s_mov_b64 s[12:13], 0
	s_mov_b64 s[10:11], s[0:1]
.LBB8_266:                              ;   in Loop: Header=BB8_232 Depth=1
	s_andn2_b64 vcc, exec, s[12:13]
	s_mov_b32 s15, 0
	s_cbranch_vccnz .LBB8_268
; %bb.267:                              ;   in Loop: Header=BB8_232 Depth=1
	global_load_dwordx2 v[14:15], v29, s[0:1]
	s_add_i32 s15, s14, -8
.LBB8_268:                              ;   in Loop: Header=BB8_232 Depth=1
	s_add_u32 s0, s10, 8
	s_addc_u32 s1, s11, 0
	s_cmp_gt_u32 s15, 7
	s_cbranch_scc1 .LBB8_272
; %bb.269:                              ;   in Loop: Header=BB8_232 Depth=1
	s_cmp_eq_u32 s15, 0
	s_cbranch_scc1 .LBB8_273
; %bb.270:                              ;   in Loop: Header=BB8_232 Depth=1
	s_mov_b64 s[0:1], 0
	v_mov_b64_e32 v[16:17], 0
	s_mov_b64 s[12:13], 0
.LBB8_271:                              ;   Parent Loop BB8_232 Depth=1
                                        ; =>  This Inner Loop Header: Depth=2
	s_add_u32 s16, s10, s12
	s_addc_u32 s17, s11, s13
	global_load_ubyte v2, v29, s[16:17]
	s_add_u32 s12, s12, 1
	s_addc_u32 s13, s13, 0
	s_waitcnt vmcnt(0)
	v_and_b32_e32 v28, 0xffff, v2
	v_lshlrev_b64 v[2:3], s0, v[28:29]
	s_add_u32 s0, s0, 8
	s_addc_u32 s1, s1, 0
	v_or_b32_e32 v16, v2, v16
	s_cmp_lg_u32 s15, s12
	v_or_b32_e32 v17, v3, v17
	s_cbranch_scc1 .LBB8_271
	s_branch .LBB8_274
.LBB8_272:                              ;   in Loop: Header=BB8_232 Depth=1
	s_mov_b64 s[12:13], -1
	s_branch .LBB8_275
.LBB8_273:                              ;   in Loop: Header=BB8_232 Depth=1
	v_mov_b64_e32 v[16:17], 0
.LBB8_274:                              ;   in Loop: Header=BB8_232 Depth=1
	s_mov_b64 s[12:13], 0
	s_mov_b64 s[0:1], s[10:11]
.LBB8_275:                              ;   in Loop: Header=BB8_232 Depth=1
	s_andn2_b64 vcc, exec, s[12:13]
	s_mov_b32 s14, 0
	s_cbranch_vccnz .LBB8_277
; %bb.276:                              ;   in Loop: Header=BB8_232 Depth=1
	global_load_dwordx2 v[16:17], v29, s[10:11]
	s_add_i32 s14, s15, -8
.LBB8_277:                              ;   in Loop: Header=BB8_232 Depth=1
	s_add_u32 s10, s0, 8
	s_addc_u32 s11, s1, 0
	s_cmp_gt_u32 s14, 7
	s_cbranch_scc1 .LBB8_281
; %bb.278:                              ;   in Loop: Header=BB8_232 Depth=1
	s_cmp_eq_u32 s14, 0
	s_cbranch_scc1 .LBB8_282
; %bb.279:                              ;   in Loop: Header=BB8_232 Depth=1
	s_mov_b64 s[10:11], 0
	v_mov_b64_e32 v[18:19], 0
	s_mov_b64 s[12:13], 0
.LBB8_280:                              ;   Parent Loop BB8_232 Depth=1
                                        ; =>  This Inner Loop Header: Depth=2
	s_add_u32 s16, s0, s12
	s_addc_u32 s17, s1, s13
	global_load_ubyte v2, v29, s[16:17]
	s_add_u32 s12, s12, 1
	s_addc_u32 s13, s13, 0
	s_waitcnt vmcnt(0)
	v_and_b32_e32 v28, 0xffff, v2
	v_lshlrev_b64 v[2:3], s10, v[28:29]
	s_add_u32 s10, s10, 8
	s_addc_u32 s11, s11, 0
	v_or_b32_e32 v18, v2, v18
	s_cmp_lg_u32 s14, s12
	v_or_b32_e32 v19, v3, v19
	s_cbranch_scc1 .LBB8_280
	s_branch .LBB8_283
.LBB8_281:                              ;   in Loop: Header=BB8_232 Depth=1
	s_mov_b64 s[12:13], -1
                                        ; implicit-def: $vgpr18_vgpr19
	s_branch .LBB8_284
.LBB8_282:                              ;   in Loop: Header=BB8_232 Depth=1
	v_mov_b64_e32 v[18:19], 0
.LBB8_283:                              ;   in Loop: Header=BB8_232 Depth=1
	s_mov_b64 s[12:13], 0
	s_mov_b64 s[10:11], s[0:1]
.LBB8_284:                              ;   in Loop: Header=BB8_232 Depth=1
	s_andn2_b64 vcc, exec, s[12:13]
	s_mov_b32 s15, 0
	s_cbranch_vccnz .LBB8_286
; %bb.285:                              ;   in Loop: Header=BB8_232 Depth=1
	global_load_dwordx2 v[18:19], v29, s[0:1]
	s_add_i32 s15, s14, -8
.LBB8_286:                              ;   in Loop: Header=BB8_232 Depth=1
	s_cmp_gt_u32 s15, 7
	s_cbranch_scc1 .LBB8_290
; %bb.287:                              ;   in Loop: Header=BB8_232 Depth=1
	s_cmp_eq_u32 s15, 0
	s_cbranch_scc1 .LBB8_291
; %bb.288:                              ;   in Loop: Header=BB8_232 Depth=1
	s_mov_b64 s[0:1], 0
	v_mov_b64_e32 v[20:21], 0
	s_mov_b64 s[12:13], s[10:11]
.LBB8_289:                              ;   Parent Loop BB8_232 Depth=1
                                        ; =>  This Inner Loop Header: Depth=2
	global_load_ubyte v2, v29, s[12:13]
	s_add_i32 s15, s15, -1
	s_waitcnt vmcnt(0)
	v_and_b32_e32 v28, 0xffff, v2
	v_lshlrev_b64 v[2:3], s0, v[28:29]
	s_add_u32 s0, s0, 8
	s_addc_u32 s1, s1, 0
	s_add_u32 s12, s12, 1
	s_addc_u32 s13, s13, 0
	v_or_b32_e32 v20, v2, v20
	s_cmp_lg_u32 s15, 0
	v_or_b32_e32 v21, v3, v21
	s_cbranch_scc1 .LBB8_289
	s_branch .LBB8_292
.LBB8_290:                              ;   in Loop: Header=BB8_232 Depth=1
	s_mov_b64 s[0:1], -1
	s_branch .LBB8_293
.LBB8_291:                              ;   in Loop: Header=BB8_232 Depth=1
	v_mov_b64_e32 v[20:21], 0
.LBB8_292:                              ;   in Loop: Header=BB8_232 Depth=1
	s_mov_b64 s[0:1], 0
.LBB8_293:                              ;   in Loop: Header=BB8_232 Depth=1
	s_andn2_b64 vcc, exec, s[0:1]
	s_cbranch_vccnz .LBB8_295
; %bb.294:                              ;   in Loop: Header=BB8_232 Depth=1
	global_load_dwordx2 v[20:21], v29, s[10:11]
.LBB8_295:                              ;   in Loop: Header=BB8_232 Depth=1
	v_readfirstlane_b32 s0, v32
	v_mov_b64_e32 v[2:3], 0
	s_nop 0
	v_cmp_eq_u32_e64 s[0:1], s0, v32
	s_and_saveexec_b64 s[10:11], s[0:1]
	s_cbranch_execz .LBB8_301
; %bb.296:                              ;   in Loop: Header=BB8_232 Depth=1
	global_load_dwordx2 v[24:25], v29, s[2:3] offset:24 sc0 sc1
	s_waitcnt vmcnt(0)
	buffer_inv sc0 sc1
	global_load_dwordx2 v[2:3], v29, s[2:3] offset:40
	global_load_dwordx2 v[22:23], v29, s[2:3]
	s_waitcnt vmcnt(1)
	v_and_b32_e32 v2, v2, v24
	v_and_b32_e32 v3, v3, v25
	v_mul_lo_u32 v3, v3, 24
	v_mul_hi_u32 v27, v2, 24
	v_add_u32_e32 v3, v27, v3
	v_mul_lo_u32 v2, v2, 24
	s_waitcnt vmcnt(0)
	v_lshl_add_u64 v[2:3], v[22:23], 0, v[2:3]
	global_load_dwordx2 v[22:23], v[2:3], off sc0 sc1
	s_waitcnt vmcnt(0)
	global_atomic_cmpswap_x2 v[2:3], v29, v[22:25], s[2:3] offset:24 sc0 sc1
	s_waitcnt vmcnt(0)
	buffer_inv sc0 sc1
	v_cmp_ne_u64_e32 vcc, v[2:3], v[24:25]
	s_and_saveexec_b64 s[12:13], vcc
	s_cbranch_execz .LBB8_300
; %bb.297:                              ;   in Loop: Header=BB8_232 Depth=1
	s_mov_b64 s[14:15], 0
.LBB8_298:                              ;   Parent Loop BB8_232 Depth=1
                                        ; =>  This Inner Loop Header: Depth=2
	s_sleep 1
	global_load_dwordx2 v[22:23], v29, s[2:3] offset:40
	global_load_dwordx2 v[30:31], v29, s[2:3]
	v_mov_b64_e32 v[24:25], v[2:3]
	s_waitcnt vmcnt(1)
	v_and_b32_e32 v2, v22, v24
	s_waitcnt vmcnt(0)
	v_mad_u64_u32 v[2:3], s[16:17], v2, 24, v[30:31]
	v_and_b32_e32 v23, v23, v25
	v_mov_b32_e32 v22, v3
	v_mad_u64_u32 v[22:23], s[16:17], v23, 24, v[22:23]
	v_mov_b32_e32 v3, v22
	global_load_dwordx2 v[22:23], v[2:3], off sc0 sc1
	s_waitcnt vmcnt(0)
	global_atomic_cmpswap_x2 v[2:3], v29, v[22:25], s[2:3] offset:24 sc0 sc1
	s_waitcnt vmcnt(0)
	buffer_inv sc0 sc1
	v_cmp_eq_u64_e32 vcc, v[2:3], v[24:25]
	s_or_b64 s[14:15], vcc, s[14:15]
	s_andn2_b64 exec, exec, s[14:15]
	s_cbranch_execnz .LBB8_298
; %bb.299:                              ;   in Loop: Header=BB8_232 Depth=1
	s_or_b64 exec, exec, s[14:15]
.LBB8_300:                              ;   in Loop: Header=BB8_232 Depth=1
	s_or_b64 exec, exec, s[12:13]
.LBB8_301:                              ;   in Loop: Header=BB8_232 Depth=1
	s_or_b64 exec, exec, s[10:11]
	global_load_dwordx2 v[30:31], v29, s[2:3] offset:40
	global_load_dwordx4 v[22:25], v29, s[2:3]
	v_readfirstlane_b32 s11, v3
	v_readfirstlane_b32 s10, v2
	s_mov_b64 s[12:13], exec
	s_waitcnt vmcnt(1)
	v_readfirstlane_b32 s14, v30
	v_readfirstlane_b32 s15, v31
	s_and_b64 s[14:15], s[14:15], s[10:11]
	s_mul_i32 s16, s15, 24
	s_mul_hi_u32 s17, s14, 24
	s_add_i32 s17, s17, s16
	s_mul_i32 s16, s14, 24
	s_waitcnt vmcnt(0)
	v_lshl_add_u64 v[30:31], v[22:23], 0, s[16:17]
	s_and_saveexec_b64 s[16:17], s[0:1]
	s_cbranch_execz .LBB8_303
; %bb.302:                              ;   in Loop: Header=BB8_232 Depth=1
	v_mov_b64_e32 v[2:3], s[12:13]
	global_store_dwordx4 v[30:31], v[2:5], off offset:8
.LBB8_303:                              ;   in Loop: Header=BB8_232 Depth=1
	s_or_b64 exec, exec, s[16:17]
	s_lshl_b64 s[12:13], s[14:15], 12
	v_lshl_add_u64 v[2:3], v[24:25], 0, s[12:13]
	v_cmp_gt_u64_e64 s[12:13], s[6:7], 56
	s_and_b64 s[12:13], s[12:13], exec
	s_cselect_b32 s12, 0, 2
	s_lshl_b32 s13, s8, 2
	s_add_i32 s13, s13, 28
	v_and_b32_e32 v6, 0xffffff1f, v6
	s_and_b32 s13, s13, 0x1e0
	v_or_b32_e32 v6, s12, v6
	v_or_b32_e32 v6, s13, v6
	v_readfirstlane_b32 s12, v2
	v_readfirstlane_b32 s13, v3
	s_nop 4
	global_store_dwordx4 v26, v[6:9], s[12:13]
	global_store_dwordx4 v26, v[10:13], s[12:13] offset:16
	global_store_dwordx4 v26, v[14:17], s[12:13] offset:32
	;; [unrolled: 1-line block ×3, first 2 shown]
	s_and_saveexec_b64 s[12:13], s[0:1]
	s_cbranch_execz .LBB8_311
; %bb.304:                              ;   in Loop: Header=BB8_232 Depth=1
	global_load_dwordx2 v[14:15], v29, s[2:3] offset:32 sc0 sc1
	global_load_dwordx2 v[6:7], v29, s[2:3] offset:40
	v_mov_b32_e32 v12, s10
	v_mov_b32_e32 v13, s11
	s_waitcnt vmcnt(0)
	v_readfirstlane_b32 s14, v6
	v_readfirstlane_b32 s15, v7
	s_and_b64 s[14:15], s[14:15], s[10:11]
	s_mul_i32 s15, s15, 24
	s_mul_hi_u32 s16, s14, 24
	s_mul_i32 s14, s14, 24
	s_add_i32 s15, s16, s15
	v_lshl_add_u64 v[10:11], v[22:23], 0, s[14:15]
	global_store_dwordx2 v[10:11], v[14:15], off
	buffer_wbl2 sc0 sc1
	s_waitcnt vmcnt(0)
	global_atomic_cmpswap_x2 v[8:9], v29, v[12:15], s[2:3] offset:32 sc0 sc1
	s_waitcnt vmcnt(0)
	v_cmp_ne_u64_e32 vcc, v[8:9], v[14:15]
	s_and_saveexec_b64 s[14:15], vcc
	s_cbranch_execz .LBB8_307
; %bb.305:                              ;   in Loop: Header=BB8_232 Depth=1
	s_mov_b64 s[16:17], 0
.LBB8_306:                              ;   Parent Loop BB8_232 Depth=1
                                        ; =>  This Inner Loop Header: Depth=2
	s_sleep 1
	global_store_dwordx2 v[10:11], v[8:9], off
	v_mov_b32_e32 v6, s10
	v_mov_b32_e32 v7, s11
	buffer_wbl2 sc0 sc1
	s_waitcnt vmcnt(0)
	global_atomic_cmpswap_x2 v[6:7], v29, v[6:9], s[2:3] offset:32 sc0 sc1
	s_waitcnt vmcnt(0)
	v_cmp_eq_u64_e32 vcc, v[6:7], v[8:9]
	s_or_b64 s[16:17], vcc, s[16:17]
	v_mov_b64_e32 v[8:9], v[6:7]
	s_andn2_b64 exec, exec, s[16:17]
	s_cbranch_execnz .LBB8_306
.LBB8_307:                              ;   in Loop: Header=BB8_232 Depth=1
	s_or_b64 exec, exec, s[14:15]
	global_load_dwordx2 v[6:7], v29, s[2:3] offset:16
	s_mov_b64 s[16:17], exec
	v_mbcnt_lo_u32_b32 v8, s16, 0
	v_mbcnt_hi_u32_b32 v8, s17, v8
	v_cmp_eq_u32_e32 vcc, 0, v8
	s_and_saveexec_b64 s[14:15], vcc
	s_cbranch_execz .LBB8_309
; %bb.308:                              ;   in Loop: Header=BB8_232 Depth=1
	s_bcnt1_i32_b64 s16, s[16:17]
	v_mov_b32_e32 v28, s16
	buffer_wbl2 sc0 sc1
	s_waitcnt vmcnt(0)
	global_atomic_add_x2 v[6:7], v[28:29], off offset:8 sc1
.LBB8_309:                              ;   in Loop: Header=BB8_232 Depth=1
	s_or_b64 exec, exec, s[14:15]
	s_waitcnt vmcnt(0)
	global_load_dwordx2 v[8:9], v[6:7], off offset:16
	s_waitcnt vmcnt(0)
	v_cmp_eq_u64_e32 vcc, 0, v[8:9]
	s_cbranch_vccnz .LBB8_311
; %bb.310:                              ;   in Loop: Header=BB8_232 Depth=1
	global_load_dword v28, v[6:7], off offset:24
	s_waitcnt vmcnt(0)
	v_readfirstlane_b32 s14, v28
	s_and_b32 m0, s14, 0xffffff
	buffer_wbl2 sc0 sc1
	global_store_dwordx2 v[8:9], v[28:29], off sc0 sc1
	s_sendmsg sendmsg(MSG_INTERRUPT)
.LBB8_311:                              ;   in Loop: Header=BB8_232 Depth=1
	s_or_b64 exec, exec, s[12:13]
	v_mov_b32_e32 v27, v29
	v_lshl_add_u64 v[2:3], v[2:3], 0, v[26:27]
	s_branch .LBB8_315
.LBB8_312:                              ;   in Loop: Header=BB8_315 Depth=2
	s_or_b64 exec, exec, s[12:13]
	v_readfirstlane_b32 s12, v6
	s_cmp_eq_u32 s12, 0
	s_cbranch_scc1 .LBB8_314
; %bb.313:                              ;   in Loop: Header=BB8_315 Depth=2
	s_sleep 1
	s_cbranch_execnz .LBB8_315
	s_branch .LBB8_317
.LBB8_314:                              ;   in Loop: Header=BB8_232 Depth=1
	s_branch .LBB8_317
.LBB8_315:                              ;   Parent Loop BB8_232 Depth=1
                                        ; =>  This Inner Loop Header: Depth=2
	v_mov_b32_e32 v6, 1
	s_and_saveexec_b64 s[12:13], s[0:1]
	s_cbranch_execz .LBB8_312
; %bb.316:                              ;   in Loop: Header=BB8_315 Depth=2
	global_load_dword v6, v[30:31], off offset:20 sc0 sc1
	s_waitcnt vmcnt(0)
	buffer_inv sc0 sc1
	v_and_b32_e32 v6, 1, v6
	s_branch .LBB8_312
.LBB8_317:                              ;   in Loop: Header=BB8_232 Depth=1
	global_load_dwordx4 v[6:9], v[2:3], off
	s_and_saveexec_b64 s[12:13], s[0:1]
	s_cbranch_execz .LBB8_231
; %bb.318:                              ;   in Loop: Header=BB8_232 Depth=1
	global_load_dwordx2 v[2:3], v29, s[2:3] offset:40
	global_load_dwordx2 v[12:13], v29, s[2:3] offset:24 sc0 sc1
	global_load_dwordx2 v[8:9], v29, s[2:3]
	s_waitcnt vmcnt(2)
	v_readfirstlane_b32 s14, v2
	v_readfirstlane_b32 s15, v3
	s_add_u32 s16, s14, 1
	s_addc_u32 s17, s15, 0
	s_add_u32 s0, s16, s10
	s_addc_u32 s1, s17, s11
	s_cmp_eq_u64 s[0:1], 0
	s_cselect_b32 s1, s17, s1
	s_cselect_b32 s0, s16, s0
	s_and_b64 s[10:11], s[0:1], s[14:15]
	s_mul_i32 s11, s11, 24
	s_mul_hi_u32 s14, s10, 24
	s_mul_i32 s10, s10, 24
	s_add_i32 s11, s14, s11
	s_waitcnt vmcnt(0)
	v_lshl_add_u64 v[2:3], v[8:9], 0, s[10:11]
	v_mov_b32_e32 v10, s0
	global_store_dwordx2 v[2:3], v[12:13], off
	v_mov_b32_e32 v11, s1
	buffer_wbl2 sc0 sc1
	s_waitcnt vmcnt(0)
	global_atomic_cmpswap_x2 v[10:11], v29, v[10:13], s[2:3] offset:24 sc0 sc1
	s_waitcnt vmcnt(0)
	v_cmp_ne_u64_e32 vcc, v[10:11], v[12:13]
	s_and_b64 exec, exec, vcc
	s_cbranch_execz .LBB8_231
; %bb.319:                              ;   in Loop: Header=BB8_232 Depth=1
	s_mov_b64 s[10:11], 0
.LBB8_320:                              ;   Parent Loop BB8_232 Depth=1
                                        ; =>  This Inner Loop Header: Depth=2
	s_sleep 1
	global_store_dwordx2 v[2:3], v[10:11], off
	v_mov_b32_e32 v8, s0
	v_mov_b32_e32 v9, s1
	buffer_wbl2 sc0 sc1
	s_waitcnt vmcnt(0)
	global_atomic_cmpswap_x2 v[8:9], v29, v[8:11], s[2:3] offset:24 sc0 sc1
	s_waitcnt vmcnt(0)
	v_cmp_eq_u64_e32 vcc, v[8:9], v[10:11]
	s_or_b64 s[10:11], vcc, s[10:11]
	v_mov_b64_e32 v[10:11], v[8:9]
	s_andn2_b64 exec, exec, s[10:11]
	s_cbranch_execnz .LBB8_320
	s_branch .LBB8_231
.LBB8_321:
	s_mov_b64 s[0:1], 0
	s_branch .LBB8_323
.LBB8_322:
	s_mov_b64 s[0:1], -1
.LBB8_323:
	s_and_b64 vcc, exec, s[0:1]
	s_cbranch_vccz .LBB8_350
; %bb.324:
	v_readfirstlane_b32 s0, v32
	s_waitcnt vmcnt(0)
	v_mov_b64_e32 v[8:9], 0
	v_cmp_eq_u32_e64 s[0:1], s0, v32
	s_and_saveexec_b64 s[4:5], s[0:1]
	s_cbranch_execz .LBB8_330
; %bb.325:
	v_mov_b32_e32 v2, 0
	global_load_dwordx2 v[6:7], v2, s[2:3] offset:24 sc0 sc1
	s_waitcnt vmcnt(0)
	buffer_inv sc0 sc1
	global_load_dwordx2 v[4:5], v2, s[2:3] offset:40
	global_load_dwordx2 v[8:9], v2, s[2:3]
	s_waitcnt vmcnt(1)
	v_and_b32_e32 v3, v4, v6
	v_and_b32_e32 v4, v5, v7
	v_mul_lo_u32 v4, v4, 24
	v_mul_hi_u32 v5, v3, 24
	v_add_u32_e32 v5, v5, v4
	v_mul_lo_u32 v4, v3, 24
	s_waitcnt vmcnt(0)
	v_lshl_add_u64 v[4:5], v[8:9], 0, v[4:5]
	global_load_dwordx2 v[4:5], v[4:5], off sc0 sc1
	s_waitcnt vmcnt(0)
	global_atomic_cmpswap_x2 v[8:9], v2, v[4:7], s[2:3] offset:24 sc0 sc1
	s_waitcnt vmcnt(0)
	buffer_inv sc0 sc1
	v_cmp_ne_u64_e32 vcc, v[8:9], v[6:7]
	s_and_saveexec_b64 s[6:7], vcc
	s_cbranch_execz .LBB8_329
; %bb.326:
	s_mov_b64 s[8:9], 0
.LBB8_327:                              ; =>This Inner Loop Header: Depth=1
	s_sleep 1
	global_load_dwordx2 v[4:5], v2, s[2:3] offset:40
	global_load_dwordx2 v[10:11], v2, s[2:3]
	v_mov_b64_e32 v[6:7], v[8:9]
	s_waitcnt vmcnt(1)
	v_and_b32_e32 v4, v4, v6
	v_and_b32_e32 v3, v5, v7
	s_waitcnt vmcnt(0)
	v_mad_u64_u32 v[4:5], s[10:11], v4, 24, v[10:11]
	v_mov_b32_e32 v8, v5
	v_mad_u64_u32 v[8:9], s[10:11], v3, 24, v[8:9]
	v_mov_b32_e32 v5, v8
	global_load_dwordx2 v[4:5], v[4:5], off sc0 sc1
	s_waitcnt vmcnt(0)
	global_atomic_cmpswap_x2 v[8:9], v2, v[4:7], s[2:3] offset:24 sc0 sc1
	s_waitcnt vmcnt(0)
	buffer_inv sc0 sc1
	v_cmp_eq_u64_e32 vcc, v[8:9], v[6:7]
	s_or_b64 s[8:9], vcc, s[8:9]
	s_andn2_b64 exec, exec, s[8:9]
	s_cbranch_execnz .LBB8_327
; %bb.328:
	s_or_b64 exec, exec, s[8:9]
.LBB8_329:
	s_or_b64 exec, exec, s[6:7]
.LBB8_330:
	s_or_b64 exec, exec, s[4:5]
	v_mov_b32_e32 v2, 0
	global_load_dwordx2 v[10:11], v2, s[2:3] offset:40
	global_load_dwordx4 v[4:7], v2, s[2:3]
	v_readfirstlane_b32 s5, v9
	v_readfirstlane_b32 s4, v8
	s_mov_b64 s[6:7], exec
	s_waitcnt vmcnt(1)
	v_readfirstlane_b32 s8, v10
	v_readfirstlane_b32 s9, v11
	s_and_b64 s[8:9], s[8:9], s[4:5]
	s_mul_i32 s10, s9, 24
	s_mul_hi_u32 s11, s8, 24
	s_add_i32 s11, s11, s10
	s_mul_i32 s10, s8, 24
	s_waitcnt vmcnt(0)
	v_lshl_add_u64 v[8:9], v[4:5], 0, s[10:11]
	s_and_saveexec_b64 s[10:11], s[0:1]
	s_cbranch_execz .LBB8_332
; %bb.331:
	v_mov_b64_e32 v[10:11], s[6:7]
	v_mov_b32_e32 v12, 2
	v_mov_b32_e32 v13, 1
	global_store_dwordx4 v[8:9], v[10:13], off offset:8
.LBB8_332:
	s_or_b64 exec, exec, s[10:11]
	s_lshl_b64 s[6:7], s[8:9], 12
	v_lshl_add_u64 v[6:7], v[6:7], 0, s[6:7]
	s_movk_i32 s6, 0xff1d
	s_mov_b32 s8, 0
	v_and_or_b32 v0, v0, s6, 34
	v_mov_b32_e32 v3, v2
	v_readfirstlane_b32 s6, v6
	v_readfirstlane_b32 s7, v7
	s_mov_b32 s9, s8
	s_mov_b32 s10, s8
	;; [unrolled: 1-line block ×3, first 2 shown]
	s_nop 1
	global_store_dwordx4 v26, v[0:3], s[6:7]
	s_nop 1
	v_mov_b64_e32 v[0:1], s[8:9]
	v_mov_b64_e32 v[2:3], s[10:11]
	global_store_dwordx4 v26, v[0:3], s[6:7] offset:16
	global_store_dwordx4 v26, v[0:3], s[6:7] offset:32
	;; [unrolled: 1-line block ×3, first 2 shown]
	s_and_saveexec_b64 s[6:7], s[0:1]
	s_cbranch_execz .LBB8_340
; %bb.333:
	v_mov_b32_e32 v6, 0
	global_load_dwordx2 v[12:13], v6, s[2:3] offset:32 sc0 sc1
	global_load_dwordx2 v[0:1], v6, s[2:3] offset:40
	v_mov_b32_e32 v10, s4
	v_mov_b32_e32 v11, s5
	s_waitcnt vmcnt(0)
	v_readfirstlane_b32 s8, v0
	v_readfirstlane_b32 s9, v1
	s_and_b64 s[8:9], s[8:9], s[4:5]
	s_mul_i32 s9, s9, 24
	s_mul_hi_u32 s10, s8, 24
	s_mul_i32 s8, s8, 24
	s_add_i32 s9, s10, s9
	v_lshl_add_u64 v[4:5], v[4:5], 0, s[8:9]
	global_store_dwordx2 v[4:5], v[12:13], off
	buffer_wbl2 sc0 sc1
	s_waitcnt vmcnt(0)
	global_atomic_cmpswap_x2 v[2:3], v6, v[10:13], s[2:3] offset:32 sc0 sc1
	s_waitcnt vmcnt(0)
	v_cmp_ne_u64_e32 vcc, v[2:3], v[12:13]
	s_and_saveexec_b64 s[8:9], vcc
	s_cbranch_execz .LBB8_336
; %bb.334:
	s_mov_b64 s[10:11], 0
.LBB8_335:                              ; =>This Inner Loop Header: Depth=1
	s_sleep 1
	global_store_dwordx2 v[4:5], v[2:3], off
	v_mov_b32_e32 v0, s4
	v_mov_b32_e32 v1, s5
	buffer_wbl2 sc0 sc1
	s_waitcnt vmcnt(0)
	global_atomic_cmpswap_x2 v[0:1], v6, v[0:3], s[2:3] offset:32 sc0 sc1
	s_waitcnt vmcnt(0)
	v_cmp_eq_u64_e32 vcc, v[0:1], v[2:3]
	s_or_b64 s[10:11], vcc, s[10:11]
	v_mov_b64_e32 v[2:3], v[0:1]
	s_andn2_b64 exec, exec, s[10:11]
	s_cbranch_execnz .LBB8_335
.LBB8_336:
	s_or_b64 exec, exec, s[8:9]
	v_mov_b32_e32 v3, 0
	global_load_dwordx2 v[0:1], v3, s[2:3] offset:16
	s_mov_b64 s[8:9], exec
	v_mbcnt_lo_u32_b32 v2, s8, 0
	v_mbcnt_hi_u32_b32 v2, s9, v2
	v_cmp_eq_u32_e32 vcc, 0, v2
	s_and_saveexec_b64 s[10:11], vcc
	s_cbranch_execz .LBB8_338
; %bb.337:
	s_bcnt1_i32_b64 s8, s[8:9]
	v_mov_b32_e32 v2, s8
	buffer_wbl2 sc0 sc1
	s_waitcnt vmcnt(0)
	global_atomic_add_x2 v[0:1], v[2:3], off offset:8 sc1
.LBB8_338:
	s_or_b64 exec, exec, s[10:11]
	s_waitcnt vmcnt(0)
	global_load_dwordx2 v[2:3], v[0:1], off offset:16
	s_waitcnt vmcnt(0)
	v_cmp_eq_u64_e32 vcc, 0, v[2:3]
	s_cbranch_vccnz .LBB8_340
; %bb.339:
	global_load_dword v0, v[0:1], off offset:24
	v_mov_b32_e32 v1, 0
	s_waitcnt vmcnt(0)
	v_readfirstlane_b32 s8, v0
	s_and_b32 m0, s8, 0xffffff
	buffer_wbl2 sc0 sc1
	global_store_dwordx2 v[2:3], v[0:1], off sc0 sc1
	s_sendmsg sendmsg(MSG_INTERRUPT)
.LBB8_340:
	s_or_b64 exec, exec, s[6:7]
	s_branch .LBB8_344
.LBB8_341:                              ;   in Loop: Header=BB8_344 Depth=1
	s_or_b64 exec, exec, s[6:7]
	v_readfirstlane_b32 s6, v0
	s_cmp_eq_u32 s6, 0
	s_cbranch_scc1 .LBB8_343
; %bb.342:                              ;   in Loop: Header=BB8_344 Depth=1
	s_sleep 1
	s_cbranch_execnz .LBB8_344
	s_branch .LBB8_346
.LBB8_343:
	s_branch .LBB8_346
.LBB8_344:                              ; =>This Inner Loop Header: Depth=1
	v_mov_b32_e32 v0, 1
	s_and_saveexec_b64 s[6:7], s[0:1]
	s_cbranch_execz .LBB8_341
; %bb.345:                              ;   in Loop: Header=BB8_344 Depth=1
	global_load_dword v0, v[8:9], off offset:20 sc0 sc1
	s_waitcnt vmcnt(0)
	buffer_inv sc0 sc1
	v_and_b32_e32 v0, 1, v0
	s_branch .LBB8_341
.LBB8_346:
	s_and_saveexec_b64 s[6:7], s[0:1]
	s_cbranch_execz .LBB8_349
; %bb.347:
	v_mov_b32_e32 v6, 0
	global_load_dwordx2 v[0:1], v6, s[2:3] offset:40
	global_load_dwordx2 v[10:11], v6, s[2:3] offset:24 sc0 sc1
	global_load_dwordx2 v[2:3], v6, s[2:3]
	s_waitcnt vmcnt(2)
	v_readfirstlane_b32 s8, v0
	v_readfirstlane_b32 s9, v1
	s_add_u32 s10, s8, 1
	s_addc_u32 s11, s9, 0
	s_add_u32 s0, s10, s4
	s_addc_u32 s1, s11, s5
	s_cmp_eq_u64 s[0:1], 0
	s_cselect_b32 s1, s11, s1
	s_cselect_b32 s0, s10, s0
	s_and_b64 s[4:5], s[0:1], s[8:9]
	s_mul_i32 s5, s5, 24
	s_mul_hi_u32 s8, s4, 24
	s_mul_i32 s4, s4, 24
	s_add_i32 s5, s8, s5
	s_waitcnt vmcnt(0)
	v_lshl_add_u64 v[4:5], v[2:3], 0, s[4:5]
	v_mov_b32_e32 v8, s0
	global_store_dwordx2 v[4:5], v[10:11], off
	v_mov_b32_e32 v9, s1
	buffer_wbl2 sc0 sc1
	s_waitcnt vmcnt(0)
	global_atomic_cmpswap_x2 v[2:3], v6, v[8:11], s[2:3] offset:24 sc0 sc1
	s_mov_b64 s[4:5], 0
	s_waitcnt vmcnt(0)
	v_cmp_ne_u64_e32 vcc, v[2:3], v[10:11]
	s_and_b64 exec, exec, vcc
	s_cbranch_execz .LBB8_349
.LBB8_348:                              ; =>This Inner Loop Header: Depth=1
	s_sleep 1
	global_store_dwordx2 v[4:5], v[2:3], off
	v_mov_b32_e32 v0, s0
	v_mov_b32_e32 v1, s1
	buffer_wbl2 sc0 sc1
	s_waitcnt vmcnt(0)
	global_atomic_cmpswap_x2 v[0:1], v6, v[0:3], s[2:3] offset:24 sc0 sc1
	s_waitcnt vmcnt(0)
	v_cmp_eq_u64_e32 vcc, v[0:1], v[2:3]
	s_or_b64 s[4:5], vcc, s[4:5]
	v_mov_b64_e32 v[2:3], v[0:1]
	s_andn2_b64 exec, exec, s[4:5]
	s_cbranch_execnz .LBB8_348
.LBB8_349:
	s_or_b64 exec, exec, s[6:7]
.LBB8_350:
	s_add_u32 s8, s40, 0x58
	s_addc_u32 s9, s41, 0
	s_getpc_b64 s[0:1]
	s_add_u32 s0, s0, .str.29@rel32@lo+4
	s_addc_u32 s1, s1, .str.29@rel32@hi+12
	s_getpc_b64 s[2:3]
	s_add_u32 s2, s2, .str.19@rel32@lo+4
	s_addc_u32 s3, s3, .str.19@rel32@hi+12
	s_getpc_b64 s[4:5]
	s_add_u32 s4, s4, __PRETTY_FUNCTION__._ZN7VecsMemIjLi8192EE5fetchEi@rel32@lo+4
	s_addc_u32 s5, s5, __PRETTY_FUNCTION__._ZN7VecsMemIjLi8192EE5fetchEi@rel32@hi+12
	s_getpc_b64 s[6:7]
	s_add_u32 s6, s6, __assert_fail@rel32@lo+4
	s_addc_u32 s7, s7, __assert_fail@rel32@hi+12
	s_waitcnt vmcnt(0)
	v_mov_b32_e32 v0, s0
	v_mov_b32_e32 v1, s1
	;; [unrolled: 1-line block ×7, first 2 shown]
	s_swappc_b64 s[30:31], s[6:7]
	s_or_b64 s[0:1], s[68:69], exec
.LBB8_351:
	s_or_b64 exec, exec, s[26:27]
	s_andn2_b64 s[2:3], s[68:69], exec
	s_and_b64 s[0:1], s[0:1], exec
	s_or_b64 s[6:7], s[2:3], s[0:1]
	s_orn2_b64 s[0:1], s[24:25], exec
.LBB8_352:
	s_or_b64 exec, exec, s[22:23]
	s_mov_b64 s[2:3], s[98:99]
	s_and_saveexec_b64 s[52:53], s[0:1]
	s_cbranch_execz .LBB8_376
; %bb.353:
	s_mov_b64 s[0:1], src_private_base
	v_mov_b32_e32 v0, s1
	v_cmp_ne_u32_e32 vcc, -1, v44
	s_nop 1
	v_cndmask_b32_e32 v1, 0, v0, vcc
	v_cndmask_b32_e32 v0, 0, v44, vcc
	v_cmp_lt_i32_e32 vcc, 0, v43
	scratch_store_dwordx2 off, v[0:1], off offset:16
	s_and_saveexec_b64 s[0:1], vcc
	s_cbranch_execz .LBB8_357
; %bb.354:
	s_mov_b32 s4, 28
	s_mov_b64 s[2:3], 0
	s_mov_b32 s5, 0x55555555
	v_mov_b32_e32 v0, v43
.LBB8_355:                              ; =>This Inner Loop Header: Depth=1
	scratch_load_dword v1, off, s4
	v_add_u32_e32 v0, -1, v0
	s_add_i32 s4, s4, 4
	v_cmp_eq_u32_e32 vcc, 0, v0
	s_or_b64 s[2:3], vcc, s[2:3]
	s_waitcnt vmcnt(0)
	v_lshrrev_b32_e32 v2, 1, v1
	v_bitop3_b32 v2, v2, s5, v1 bitop3:0xc8
	v_lshl_add_u32 v2, v2, 1, v2
	v_xor_b32_e32 v1, v2, v1
	scratch_store_dword v44, v1, off
	v_add_u32_e32 v44, 4, v44
	s_andn2_b64 exec, exec, s[2:3]
	s_cbranch_execnz .LBB8_355
; %bb.356:
	s_or_b64 exec, exec, s[2:3]
	scratch_store_dword off, v43, off offset:12
.LBB8_357:
	v_writelane_b32 v46, s52, 33
	s_nop 1
	v_writelane_b32 v46, s53, 34
	v_writelane_b32 v46, s6, 35
	s_nop 1
	v_writelane_b32 v46, s7, 36
	;; [unrolled: 3-line block ×11, first 2 shown]
	s_or_b64 exec, exec, s[0:1]
	s_add_u32 s8, s40, 0x58
	v_readlane_b32 s4, v46, 31
	s_mov_b64 s[0:1], src_private_base
	s_addc_u32 s9, s41, 0
	v_readlane_b32 s5, v46, 32
	v_lshlrev_b32_e32 v2, 1, v41
	s_getpc_b64 s[2:3]
	s_add_u32 s2, s2, _ZN3sop12sopFactorRecEPNS_3SopEiP7VecsMemIjLi8192EEPN8subgUtil4SubgILi256EEE@rel32@lo+4
	s_addc_u32 s3, s3, _ZN3sop12sopFactorRecEPNS_3SopEiP7VecsMemIjLi8192EEPN8subgUtil4SubgILi256EEE@rel32@hi+12
	v_mov_b32_e32 v0, 8
	v_mov_b32_e32 v1, s1
	;; [unrolled: 1-line block ×6, first 2 shown]
	s_swappc_b64 s[30:31], s[2:3]
	v_readlane_b32 s50, v46, 35
	v_ashrrev_i32_e32 v2, 1, v0
	v_readlane_b32 s51, v46, 36
	v_cmp_ge_i32_e32 vcc, v2, v41
	s_mov_b64 s[22:23], s[98:99]
	s_mov_b64 s[24:25], s[50:51]
	s_and_saveexec_b64 s[0:1], vcc
	v_readlane_b32 s42, v46, 9
	v_readlane_b32 s60, v46, 51
	;; [unrolled: 1-line block ×11, first 2 shown]
	s_xor_b64 s[26:27], exec, s[0:1]
	v_readlane_b32 s43, v46, 10
	v_readlane_b32 s61, v46, 52
	;; [unrolled: 1-line block ×11, first 2 shown]
	s_cbranch_execz .LBB8_365
; %bb.358:
	s_mov_b64 s[0:1], -1
	s_mov_b64 s[2:3], s[50:51]
	s_mov_b64 s[22:23], exec
	v_readlane_b32 s4, v46, 27
	v_readlane_b32 s5, v46, 28
	s_and_b64 s[4:5], s[22:23], s[4:5]
	s_mov_b64 exec, s[4:5]
	s_cbranch_execz .LBB8_364
; %bb.359:
	s_mov_b32 s0, 0x8020
	scratch_load_dword v0, off, s0
	v_mov_b32_e32 v1, 0x8020
	s_mov_b64 s[24:25], 0
	s_waitcnt vmcnt(0)
	v_lshl_add_u32 v2, v0, 3, v1
	scratch_load_dwordx2 v[0:1], v2, off
	s_waitcnt vmcnt(0)
	v_lshrrev_b32_e32 v3, 1, v0
	v_cmp_lt_i64_e32 vcc, -1, v[0:1]
	v_cmp_ge_i32_e64 s[0:1], v3, v1
	s_and_b64 s[0:1], vcc, s[0:1]
	s_and_saveexec_b64 s[2:3], s[0:1]
	s_xor_b64 s[0:1], exec, s[2:3]
	s_cbranch_execz .LBB8_361
; %bb.360:
	v_xor_b32_e32 v0, 1, v0
	s_mov_b64 s[24:25], exec
	scratch_store_dwordx2 v2, v[0:1], off
.LBB8_361:
	s_or_saveexec_b64 s[28:29], s[0:1]
	s_mov_b64 s[0:1], s[50:51]
	s_xor_b64 exec, exec, s[28:29]
	s_cbranch_execz .LBB8_363
; %bb.362:
	v_readlane_b32 s0, v46, 29
	v_readlane_b32 s1, v46, 30
	s_add_u32 s8, s0, 0x58
	s_addc_u32 s9, s1, 0
	s_getpc_b64 s[0:1]
	s_add_u32 s0, s0, .str.46@rel32@lo+4
	s_addc_u32 s1, s1, .str.46@rel32@hi+12
	s_getpc_b64 s[2:3]
	s_add_u32 s2, s2, .str.44@rel32@lo+4
	s_addc_u32 s3, s3, .str.44@rel32@hi+12
	s_getpc_b64 s[4:5]
	s_add_u32 s4, s4, __PRETTY_FUNCTION__._ZN8subgUtil18formAndNodeKeyFlagEiii@rel32@lo+4
	s_addc_u32 s5, s5, __PRETTY_FUNCTION__._ZN8subgUtil18formAndNodeKeyFlagEiii@rel32@hi+12
	s_getpc_b64 s[6:7]
	s_add_u32 s6, s6, __assert_fail@rel32@lo+4
	s_addc_u32 s7, s7, __assert_fail@rel32@hi+12
	v_mov_b32_e32 v0, s0
	v_mov_b32_e32 v1, s1
	;; [unrolled: 1-line block ×7, first 2 shown]
	s_swappc_b64 s[30:31], s[6:7]
	s_or_b64 s[0:1], s[50:51], exec
.LBB8_363:
	s_or_b64 exec, exec, s[28:29]
	s_andn2_b64 s[2:3], s[50:51], exec
	s_and_b64 s[0:1], s[0:1], exec
	s_or_b64 s[2:3], s[2:3], s[0:1]
	s_orn2_b64 s[0:1], s[24:25], exec
.LBB8_364:
	s_or_b64 exec, exec, s[22:23]
	s_andn2_b64 s[4:5], s[50:51], exec
	s_and_b64 s[2:3], s[2:3], exec
	s_or_b64 s[24:25], s[4:5], s[2:3]
	s_andn2_b64 s[2:3], s[98:99], exec
	s_and_b64 s[0:1], s[0:1], exec
	s_or_b64 s[22:23], s[2:3], s[0:1]
                                        ; implicit-def: $vgpr2
                                        ; implicit-def: $vgpr0
.LBB8_365:
	s_or_saveexec_b64 s[26:27], s[26:27]
	v_readlane_b32 s40, v46, 29
	v_readlane_b32 s41, v46, 30
	s_xor_b64 exec, exec, s[26:27]
	s_cbranch_execz .LBB8_375
; %bb.366:
	s_mov_b32 s0, 0x8020
	scratch_load_dword v1, off, s0
	s_mov_b64 s[28:29], s[24:25]
	s_waitcnt vmcnt(0)
	v_cmp_ne_u32_e32 vcc, v1, v41
	s_and_saveexec_b64 s[0:1], vcc
	s_xor_b64 s[34:35], exec, s[0:1]
	s_cbranch_execz .LBB8_368
; %bb.367:
	s_add_u32 s8, s40, 0x58
	s_addc_u32 s9, s41, 0
	s_getpc_b64 s[0:1]
	s_add_u32 s0, s0, .str.32@rel32@lo+4
	s_addc_u32 s1, s1, .str.32@rel32@hi+12
	s_getpc_b64 s[2:3]
	s_add_u32 s2, s2, .str.31@rel32@lo+4
	s_addc_u32 s3, s3, .str.31@rel32@hi+12
	s_getpc_b64 s[4:5]
	s_add_u32 s4, s4, __PRETTY_FUNCTION__._ZN3sop9sopFactorEPjiiPKiiP7VecsMemIjLi8192EEPN8subgUtil4SubgILi256EEE@rel32@lo+4
	s_addc_u32 s5, s5, __PRETTY_FUNCTION__._ZN3sop9sopFactorEPjiiPKiiP7VecsMemIjLi8192EEPN8subgUtil4SubgILi256EEE@rel32@hi+12
	s_getpc_b64 s[6:7]
	s_add_u32 s6, s6, __assert_fail@rel32@lo+4
	s_addc_u32 s7, s7, __assert_fail@rel32@hi+12
	v_mov_b32_e32 v0, s0
	v_mov_b32_e32 v1, s1
	;; [unrolled: 1-line block ×7, first 2 shown]
	s_swappc_b64 s[30:31], s[6:7]
	s_or_b64 s[28:29], s[24:25], exec
                                        ; implicit-def: $vgpr2
                                        ; implicit-def: $vgpr0
.LBB8_368:
	s_or_saveexec_b64 s[34:35], s[34:35]
	s_mov_b64 s[0:1], s[22:23]
	s_xor_b64 exec, exec, s[34:35]
	s_cbranch_execz .LBB8_374
; %bb.369:
	v_readlane_b32 s0, v46, 11
	v_readlane_b32 s1, v46, 12
	v_ashrrev_i32_e32 v63, 31, v62
	v_mov_b32_e32 v4, s0
	v_mov_b32_e32 v5, s1
	v_lshl_add_u64 v[4:5], v[62:63], 2, v[4:5]
	v_ashrrev_i32_e32 v3, 31, v2
	v_lshl_add_u64 v[2:3], v[2:3], 2, v[4:5]
	global_load_dword v1, v[2:3], off
	s_mov_b64 s[36:37], s[22:23]
	v_readlane_b32 s2, v46, 13
	v_readlane_b32 s3, v46, 14
	;; [unrolled: 1-line block ×14, first 2 shown]
	s_waitcnt vmcnt(0)
	v_lshlrev_b32_e32 v1, 1, v1
	v_cmp_lt_i32_e32 vcc, -1, v1
	s_and_saveexec_b64 s[0:1], vcc
	s_xor_b64 s[0:1], exec, s[0:1]
	s_cbranch_execz .LBB8_371
; %bb.370:
	v_and_b32_e32 v0, 1, v0
	v_readlane_b32 s2, v46, 27
	v_cmp_eq_u32_e32 vcc, 1, v0
	v_readlane_b32 s3, v46, 28
	s_xor_b64 s[2:3], s[2:3], vcc
	v_add_u32_e32 v2, 1, v41
	v_cndmask_b32_e64 v0, 0, 1, s[2:3]
	s_mov_b32 s2, 0x8020
	v_or_b32_e32 v1, v1, v0
	scratch_store_dword off, v2, s2
	v_lshlrev_b32_e32 v2, 3, v41
	v_lshl_or_b32 v0, v1, 1, v0
	v_add3_u32 v2, s2, v2, 8
	s_or_b64 s[36:37], s[22:23], exec
	scratch_store_dwordx2 v2, v[0:1], off
.LBB8_371:
	s_or_saveexec_b64 s[38:39], s[0:1]
	s_mov_b64 s[0:1], s[28:29]
	s_xor_b64 exec, exec, s[38:39]
	s_cbranch_execz .LBB8_373
; %bb.372:
	s_add_u32 s8, s40, 0x58
	s_addc_u32 s9, s41, 0
	s_getpc_b64 s[0:1]
	s_add_u32 s0, s0, .str.46@rel32@lo+4
	s_addc_u32 s1, s1, .str.46@rel32@hi+12
	s_getpc_b64 s[2:3]
	s_add_u32 s2, s2, .str.44@rel32@lo+4
	s_addc_u32 s3, s3, .str.44@rel32@hi+12
	s_getpc_b64 s[4:5]
	s_add_u32 s4, s4, __PRETTY_FUNCTION__._ZN8subgUtil18formAndNodeKeyFlagEiii@rel32@lo+4
	s_addc_u32 s5, s5, __PRETTY_FUNCTION__._ZN8subgUtil18formAndNodeKeyFlagEiii@rel32@hi+12
	s_getpc_b64 s[6:7]
	s_add_u32 s6, s6, __assert_fail@rel32@lo+4
	s_addc_u32 s7, s7, __assert_fail@rel32@hi+12
	v_mov_b32_e32 v0, s0
	v_mov_b32_e32 v1, s1
	;; [unrolled: 1-line block ×7, first 2 shown]
	s_swappc_b64 s[30:31], s[6:7]
	s_or_b64 s[0:1], s[28:29], exec
.LBB8_373:
	s_or_b64 exec, exec, s[38:39]
	s_andn2_b64 s[2:3], s[28:29], exec
	s_and_b64 s[0:1], s[0:1], exec
	s_or_b64 s[28:29], s[2:3], s[0:1]
	s_andn2_b64 s[0:1], s[22:23], exec
	s_and_b64 s[2:3], s[36:37], exec
	s_or_b64 s[0:1], s[0:1], s[2:3]
.LBB8_374:
	s_or_b64 exec, exec, s[34:35]
	s_andn2_b64 s[2:3], s[24:25], exec
	s_and_b64 s[4:5], s[28:29], exec
	s_or_b64 s[24:25], s[2:3], s[4:5]
	s_andn2_b64 s[2:3], s[22:23], exec
	s_and_b64 s[0:1], s[0:1], exec
	s_or_b64 s[22:23], s[2:3], s[0:1]
.LBB8_375:
	s_or_b64 exec, exec, s[26:27]
	s_andn2_b64 s[0:1], s[50:51], exec
	s_and_b64 s[2:3], s[24:25], exec
	s_or_b64 s[6:7], s[0:1], s[2:3]
	s_andn2_b64 s[0:1], s[98:99], exec
	s_and_b64 s[2:3], s[22:23], exec
	s_or_b64 s[2:3], s[0:1], s[2:3]
.LBB8_376:
	s_or_b64 exec, exec, s[52:53]
	s_andn2_b64 s[0:1], s[68:69], exec
	s_and_b64 s[4:5], s[6:7], exec
	s_or_b64 s[22:23], s[0:1], s[4:5]
	s_andn2_b64 s[0:1], s[98:99], exec
	s_and_b64 s[2:3], s[2:3], exec
	s_or_b64 s[98:99], s[0:1], s[2:3]
	s_andn2_b64 s[44:45], s[44:45], exec
	s_or_b64 exec, exec, s[48:49]
	s_and_saveexec_b64 s[0:1], s[44:45]
	s_cbranch_execz .LBB8_382
.LBB8_377:
	v_add_u32_e32 v0, 1, v41
	s_mov_b32 s2, 0x8020
	scratch_store_dword off, v0, s2
	v_mov_b32_e32 v0, 0x8020
	v_lshl_add_u32 v0, v41, 3, v0
	s_mov_b64 s[2:3], exec
	v_readlane_b32 s4, v46, 2
	v_readlane_b32 s5, v46, 3
	s_and_b64 s[4:5], s[2:3], s[4:5]
	s_xor_b64 s[2:3], s[4:5], s[2:3]
	s_mov_b64 exec, s[4:5]
	s_cbranch_execz .LBB8_379
; %bb.378:
	v_add_u32_e32 v2, 8, v0
	v_mov_b32_e32 v0, 3
	v_mov_b32_e32 v1, 1
	scratch_store_dwordx2 v2, v[0:1], off
                                        ; implicit-def: $vgpr0
.LBB8_379:
	s_andn2_saveexec_b64 s[2:3], s[2:3]
	s_cbranch_execz .LBB8_381
; %bb.380:
	v_add_u32_e32 v2, 8, v0
	v_mov_b32_e32 v0, 0
	v_mov_b32_e32 v1, v0
	scratch_store_dwordx2 v2, v[0:1], off
.LBB8_381:
	s_or_b64 exec, exec, s[2:3]
	s_or_b64 s[98:99], s[98:99], exec
.LBB8_382:
	s_or_b64 exec, exec, s[0:1]
	s_mov_b64 s[0:1], 0
	s_mov_b64 s[2:3], 0
	s_mov_b64 s[4:5], 0
	s_and_saveexec_b64 s[24:25], s[98:99]
	s_cbranch_execz .LBB8_410
; %bb.383:
	s_mov_b32 s0, 0x8020
	s_barrier
	scratch_load_dword v6, off, s0
	v_readlane_b32 s0, v46, 27
	v_readlane_b32 s1, v46, 28
	s_mov_b64 s[26:27], s[22:23]
	s_waitcnt vmcnt(0)
	v_sub_u32_e32 v4, v6, v41
	v_cndmask_b32_e64 v0, 0, 1, s[0:1]
	v_readlane_b32 s0, v46, 11
	v_readlane_b32 s8, v46, 19
	;; [unrolled: 1-line block ×3, first 2 shown]
	v_lshl_or_b32 v0, v90, 1, v0
	v_mov_b32_e32 v2, s8
	v_mov_b32_e32 v3, s9
	v_ashrrev_i32_e32 v1, 31, v0
	v_lshl_add_u64 v[2:3], v[0:1], 2, v[2:3]
	v_cmp_gt_i32_e32 vcc, 1, v4
	v_readlane_b32 s1, v46, 12
	v_readlane_b32 s2, v46, 13
	;; [unrolled: 1-line block ×13, first 2 shown]
	global_store_dword v[2:3], v4, off
	s_and_saveexec_b64 s[0:1], vcc
	s_xor_b64 s[28:29], exec, s[0:1]
	s_cbranch_execz .LBB8_385
; %bb.384:
	s_add_u32 s8, s40, 0x58
	s_addc_u32 s9, s41, 0
	s_getpc_b64 s[0:1]
	s_add_u32 s0, s0, .str.13@rel32@lo+4
	s_addc_u32 s1, s1, .str.13@rel32@hi+12
	s_getpc_b64 s[2:3]
	s_add_u32 s2, s2, .str.1@rel32@lo+4
	s_addc_u32 s3, s3, .str.1@rel32@hi+12
	s_getpc_b64 s[4:5]
	s_add_u32 s4, s4, __PRETTY_FUNCTION__._Z15factorFromTruthPKiS0_PyPiS2_S2_PKjS4_S0_S4_i@rel32@lo+4
	s_addc_u32 s5, s5, __PRETTY_FUNCTION__._Z15factorFromTruthPKiS0_PyPiS2_S2_PKjS4_S0_S4_i@rel32@hi+12
	s_getpc_b64 s[6:7]
	s_add_u32 s6, s6, __assert_fail@rel32@lo+4
	s_addc_u32 s7, s7, __assert_fail@rel32@hi+12
	v_mov_b32_e32 v0, s0
	v_mov_b32_e32 v1, s1
	;; [unrolled: 1-line block ×7, first 2 shown]
	s_swappc_b64 s[30:31], s[6:7]
	s_or_b64 s[26:27], s[22:23], exec
                                        ; implicit-def: $vgpr0_vgpr1
                                        ; implicit-def: $vgpr6
                                        ; implicit-def: $vgpr41
                                        ; implicit-def: $vgpr42
                                        ; implicit-def: $vgpr62
.LBB8_385:
	s_or_saveexec_b64 s[28:29], s[28:29]
	s_mov_b64 s[0:1], 0
	s_mov_b64 s[2:3], 0
	;; [unrolled: 1-line block ×3, first 2 shown]
	s_xor_b64 exec, exec, s[28:29]
	s_cbranch_execz .LBB8_409
; %bb.386:
	v_readlane_b32 s0, v46, 11
	v_readlane_b32 s6, v46, 17
	;; [unrolled: 1-line block ×4, first 2 shown]
	s_mov_b64 s[0:1], s[26:27]
	v_lshl_add_u64 v[2:3], v[0:1], 2, s[6:7]
	global_load_dword v1, v[2:3], off
	v_readlane_b32 s2, v46, 13
	v_readlane_b32 s3, v46, 14
	v_readlane_b32 s4, v46, 15
	v_readlane_b32 s5, v46, 16
	v_readlane_b32 s8, v46, 19
	v_readlane_b32 s9, v46, 20
	v_readlane_b32 s10, v46, 21
	v_readlane_b32 s11, v46, 22
	v_readlane_b32 s12, v46, 23
	v_readlane_b32 s13, v46, 24
	v_readlane_b32 s14, v46, 25
	v_readlane_b32 s15, v46, 26
	s_waitcnt vmcnt(0)
	v_cmp_ne_u32_e32 vcc, -1, v1
	s_and_saveexec_b64 s[2:3], vcc
	s_xor_b64 s[34:35], exec, s[2:3]
	s_cbranch_execz .LBB8_388
; %bb.387:
	s_add_u32 s8, s40, 0x58
	s_addc_u32 s9, s41, 0
	s_getpc_b64 s[0:1]
	s_add_u32 s0, s0, .str.11@rel32@lo+4
	s_addc_u32 s1, s1, .str.11@rel32@hi+12
	s_getpc_b64 s[2:3]
	s_add_u32 s2, s2, .str.1@rel32@lo+4
	s_addc_u32 s3, s3, .str.1@rel32@hi+12
	s_getpc_b64 s[4:5]
	s_add_u32 s4, s4, __PRETTY_FUNCTION__._Z15factorFromTruthPKiS0_PyPiS2_S2_PKjS4_S0_S4_i@rel32@lo+4
	s_addc_u32 s5, s5, __PRETTY_FUNCTION__._Z15factorFromTruthPKiS0_PyPiS2_S2_PKjS4_S0_S4_i@rel32@hi+12
	s_getpc_b64 s[6:7]
	s_add_u32 s6, s6, __assert_fail@rel32@lo+4
	s_addc_u32 s7, s7, __assert_fail@rel32@hi+12
	v_mov_b32_e32 v0, s0
	v_mov_b32_e32 v1, s1
	;; [unrolled: 1-line block ×7, first 2 shown]
	s_swappc_b64 s[30:31], s[6:7]
	s_or_b64 s[0:1], s[26:27], exec
                                        ; implicit-def: $vgpr2_vgpr3
                                        ; implicit-def: $vgpr6
                                        ; implicit-def: $vgpr41
                                        ; implicit-def: $vgpr0
                                        ; implicit-def: $vgpr42
                                        ; implicit-def: $vgpr62
.LBB8_388:
	s_or_saveexec_b64 s[2:3], s[34:35]
	s_mov_b64 s[4:5], 0
	s_mov_b64 s[6:7], 0
	;; [unrolled: 1-line block ×3, first 2 shown]
	s_xor_b64 exec, exec, s[2:3]
	s_cbranch_execz .LBB8_408
; %bb.389:
	v_mov_b32_e32 v7, 0
	v_cmp_gt_i32_e32 vcc, v6, v41
	s_mov_b64 s[12:13], -1
	s_mov_b64 s[8:9], 0
	global_store_dword v[2:3], v7, off
	s_and_saveexec_b64 s[6:7], vcc
	s_cbranch_execz .LBB8_405
; %bb.390:
	v_readlane_b32 s8, v46, 4
	v_lshlrev_b32_e32 v1, 3, v42
	v_lshlrev_b32_e32 v2, 3, v62
	s_lshl_b32 s33, s8, 2
	v_sub_u32_e32 v1, v1, v2
	s_mov_b32 s8, 0x8020
	s_add_i32 s33, s33, -1
	v_add3_u32 v8, v1, s8, 8
	s_mov_b64 s[12:13], 0
	v_mov_b32_e32 v1, 0
                                        ; implicit-def: $sgpr10_sgpr11
                                        ; implicit-def: $sgpr8_sgpr9
	s_branch .LBB8_392
.LBB8_391:                              ;   in Loop: Header=BB8_392 Depth=1
	s_or_b64 exec, exec, s[18:19]
	s_xor_b64 s[16:17], s[16:17], -1
	s_xor_b64 s[14:15], s[14:15], -1
	s_and_b64 s[18:19], exec, s[30:31]
	s_or_b64 s[12:13], s[18:19], s[12:13]
	s_andn2_b64 s[8:9], s[8:9], exec
	s_and_b64 s[16:17], s[16:17], exec
	s_andn2_b64 s[10:11], s[10:11], exec
	s_and_b64 s[14:15], s[14:15], exec
	s_or_b64 s[8:9], s[8:9], s[16:17]
	s_or_b64 s[10:11], s[10:11], s[14:15]
	s_andn2_b64 exec, exec, s[12:13]
	s_cbranch_execz .LBB8_402
.LBB8_392:                              ; =>This Inner Loop Header: Depth=1
	v_cmp_eq_u32_e32 vcc, 8, v1
	s_mov_b64 s[20:21], -1
                                        ; implicit-def: $sgpr14_sgpr15
                                        ; implicit-def: $sgpr16_sgpr17
	s_and_saveexec_b64 s[18:19], vcc
	s_cbranch_execz .LBB8_400
; %bb.393:                              ;   in Loop: Header=BB8_392 Depth=1
	s_mov_b64 s[16:17], exec
	v_mbcnt_lo_u32_b32 v1, s16, 0
	v_mbcnt_hi_u32_b32 v1, s17, v1
	v_cmp_eq_u32_e32 vcc, 0, v1
                                        ; implicit-def: $vgpr2
	s_and_saveexec_b64 s[14:15], vcc
	s_cbranch_execz .LBB8_395
; %bb.394:                              ;   in Loop: Header=BB8_392 Depth=1
	s_bcnt1_i32_b64 s16, s[16:17]
	v_readlane_b32 s44, v46, 11
	v_mov_b32_e32 v2, s16
	v_readlane_b32 s54, v46, 21
	v_readlane_b32 s55, v46, 22
	;; [unrolled: 1-line block ×7, first 2 shown]
	global_atomic_add v2, v7, v2, s[54:55] sc0
	v_readlane_b32 s50, v46, 17
	v_readlane_b32 s51, v46, 18
	v_readlane_b32 s52, v46, 19
	v_readlane_b32 s53, v46, 20
	v_readlane_b32 s56, v46, 23
	v_readlane_b32 s57, v46, 24
	v_readlane_b32 s58, v46, 25
	v_readlane_b32 s59, v46, 26
.LBB8_395:                              ;   in Loop: Header=BB8_392 Depth=1
	s_or_b64 exec, exec, s[14:15]
	s_waitcnt vmcnt(0)
	v_readfirstlane_b32 s14, v2
	s_mov_b64 s[30:31], 0
	s_mov_b64 s[16:17], 0
	v_add_u32_e32 v2, s14, v1
	v_cmp_gt_i32_e32 vcc, s33, v2
	s_mov_b64 s[14:15], -1
	s_and_saveexec_b64 s[20:21], vcc
	s_cbranch_execz .LBB8_399
; %bb.396:                              ;   in Loop: Header=BB8_392 Depth=1
	v_readlane_b32 s44, v46, 11
	v_ashrrev_i32_e32 v3, 31, v2
	v_readlane_b32 s50, v46, 17
	v_readlane_b32 s51, v46, 18
	;; [unrolled: 1-line block ×4, first 2 shown]
	v_lshl_add_u64 v[4:5], v[2:3], 2, s[50:51]
	global_load_dword v1, v[4:5], off
	v_readlane_b32 s47, v46, 14
	v_readlane_b32 s48, v46, 15
	;; [unrolled: 1-line block ×11, first 2 shown]
	s_waitcnt vmcnt(0)
	v_cmp_eq_u32_e32 vcc, -1, v1
	s_and_saveexec_b64 s[14:15], vcc
	s_cbranch_execz .LBB8_398
; %bb.397:                              ;   in Loop: Header=BB8_392 Depth=1
	v_readlane_b32 s44, v46, 11
	v_ashrrev_i32_e32 v1, 31, v0
	v_readlane_b32 s50, v46, 17
	v_readlane_b32 s51, v46, 18
	s_mov_b64 s[30:31], exec
	v_readlane_b32 s45, v46, 12
	v_lshl_add_u64 v[0:1], v[0:1], 2, s[50:51]
	v_readlane_b32 s46, v46, 13
	v_readlane_b32 s47, v46, 14
	;; [unrolled: 1-line block ×12, first 2 shown]
	global_store_dword v[0:1], v2, off
	global_store_dword v[4:5], v7, off
.LBB8_398:                              ;   in Loop: Header=BB8_392 Depth=1
	s_or_b64 exec, exec, s[14:15]
	s_mov_b64 s[16:17], exec
	s_xor_b64 s[14:15], exec, -1
	s_and_b64 s[30:31], s[30:31], exec
.LBB8_399:                              ;   in Loop: Header=BB8_392 Depth=1
	s_or_b64 exec, exec, s[20:21]
	v_mov_b32_e32 v1, 0
	s_orn2_b64 s[20:21], s[30:31], exec
	v_mov_b32_e32 v0, v2
.LBB8_400:                              ;   in Loop: Header=BB8_392 Depth=1
	s_or_b64 exec, exec, s[18:19]
	s_mov_b64 s[30:31], -1
	s_and_saveexec_b64 s[18:19], s[20:21]
	s_cbranch_execz .LBB8_391
; %bb.401:                              ;   in Loop: Header=BB8_392 Depth=1
	scratch_load_dwordx2 v[2:3], v8, off
	v_lshl_add_u32 v4, v0, 3, v1
	v_add_u32_e32 v41, 1, v41
	v_readlane_b32 s44, v46, 11
	v_add_u32_e32 v9, 1, v1
	v_ashrrev_i32_e32 v5, 31, v4
	v_cmp_ge_i32_e32 vcc, v41, v6
	v_readlane_b32 s48, v46, 15
	v_readlane_b32 s49, v46, 16
	v_add_u32_e32 v8, 8, v8
	s_andn2_b64 s[16:17], s[16:17], exec
	s_andn2_b64 s[14:15], s[14:15], exec
	v_lshl_add_u64 v[4:5], v[4:5], 3, s[48:49]
	s_orn2_b64 s[30:31], vcc, exec
	v_mov_b32_e32 v1, v9
	v_readlane_b32 s45, v46, 12
	v_readlane_b32 s46, v46, 13
	;; [unrolled: 1-line block ×13, first 2 shown]
	s_waitcnt vmcnt(0)
	global_store_dwordx2 v[4:5], v[2:3], off
	s_branch .LBB8_391
.LBB8_402:
	s_or_b64 exec, exec, s[12:13]
	s_mov_b64 s[12:13], 0
	s_mov_b64 s[16:17], -1
	s_mov_b64 s[14:15], 0
	s_and_saveexec_b64 s[18:19], s[10:11]
	s_xor_b64 s[10:11], exec, s[18:19]
; %bb.403:
	s_mov_b64 s[14:15], exec
	s_xor_b64 s[16:17], exec, -1
	s_and_b64 s[12:13], s[8:9], exec
; %bb.404:
	s_or_b64 exec, exec, s[10:11]
	s_and_b64 s[10:11], s[16:17], exec
	s_and_b64 s[8:9], s[14:15], exec
	s_orn2_b64 s[12:13], s[12:13], exec
.LBB8_405:
	s_or_b64 exec, exec, s[6:7]
	s_and_saveexec_b64 s[6:7], s[12:13]
	s_cbranch_execz .LBB8_407
; %bb.406:
	s_mov_b64 s[4:5], exec
	s_andn2_b64 s[8:9], s[8:9], exec
	s_barrier
.LBB8_407:
	s_or_b64 exec, exec, s[6:7]
	s_and_b64 s[10:11], s[10:11], exec
	s_and_b64 s[6:7], s[8:9], exec
	;; [unrolled: 1-line block ×3, first 2 shown]
.LBB8_408:
	s_or_b64 exec, exec, s[2:3]
	s_andn2_b64 s[2:3], s[26:27], exec
	s_and_b64 s[0:1], s[0:1], exec
	s_or_b64 s[26:27], s[2:3], s[0:1]
	s_and_b64 s[8:9], s[10:11], exec
	s_and_b64 s[2:3], s[6:7], exec
	;; [unrolled: 1-line block ×3, first 2 shown]
.LBB8_409:
	s_or_b64 exec, exec, s[28:29]
	s_andn2_b64 s[4:5], s[22:23], exec
	s_and_b64 s[6:7], s[26:27], exec
	s_or_b64 s[22:23], s[4:5], s[6:7]
	s_and_b64 s[4:5], s[8:9], exec
	s_and_b64 s[2:3], s[2:3], exec
	;; [unrolled: 1-line block ×3, first 2 shown]
.LBB8_410:
	s_or_b64 exec, exec, s[24:25]
	s_andn2_b64 s[6:7], s[68:69], exec
	s_and_b64 s[8:9], s[22:23], exec
	s_or_b64 s[68:69], s[6:7], s[8:9]
	s_and_b64 s[4:5], s[4:5], exec
	s_and_b64 s[2:3], s[2:3], exec
	;; [unrolled: 1-line block ×3, first 2 shown]
.LBB8_411:
	s_or_b64 exec, exec, s[70:71]
	s_andn2_b64 s[6:7], s[64:65], exec
	s_and_b64 s[8:9], s[68:69], exec
	s_or_b64 s[64:65], s[6:7], s[8:9]
	s_andn2_b64 s[62:63], s[62:63], exec
	s_and_b64 s[6:7], s[4:5], exec
	s_and_b64 s[4:5], s[2:3], exec
	;; [unrolled: 1-line block ×3, first 2 shown]
.LBB8_412:
	s_or_b64 exec, exec, s[66:67]
	s_andn2_b64 s[0:1], s[72:73], exec
	s_and_b64 s[8:9], s[64:65], exec
	s_or_b64 s[72:73], s[0:1], s[8:9]
	s_and_b64 s[8:9], s[62:63], exec
	s_and_b64 s[6:7], s[6:7], exec
	;; [unrolled: 1-line block ×4, first 2 shown]
.LBB8_413:
	s_or_b64 exec, exec, s[60:61]
	v_readlane_b32 s2, v46, 5
	v_readlane_b32 s3, v46, 6
	s_andn2_b64 s[2:3], s[2:3], exec
	s_and_b64 s[10:11], s[72:73], exec
	s_or_b64 s[2:3], s[2:3], s[10:11]
	v_writelane_b32 v46, s2, 5
	s_and_b64 s[8:9], s[8:9], exec
	s_and_b64 s[6:7], s[6:7], exec
	v_writelane_b32 v46, s3, 6
	s_and_b64 s[2:3], s[4:5], exec
	s_and_b64 s[26:27], s[0:1], exec
.LBB8_414:
	v_readlane_b32 s0, v46, 7
	v_readlane_b32 s1, v46, 8
	s_or_b64 exec, exec, s[0:1]
	v_readlane_b32 s0, v46, 5
	v_readlane_b32 s1, v46, 6
	s_and_b64 s[22:23], s[0:1], exec
	s_and_b64 s[24:25], s[8:9], exec
	;; [unrolled: 1-line block ×4, first 2 shown]
	s_orn2_b64 s[2:3], s[26:27], exec
.LBB8_415:
	s_or_b64 exec, exec, s[42:43]
	s_and_saveexec_b64 s[4:5], s[2:3]
	s_or_b64 exec, exec, s[4:5]
	s_and_saveexec_b64 s[2:3], s[0:1]
	s_xor_b64 s[26:27], exec, s[2:3]
	s_cbranch_execnz .LBB8_420
; %bb.416:
	s_or_b64 exec, exec, s[26:27]
	s_and_saveexec_b64 s[0:1], s[28:29]
	s_xor_b64 s[26:27], exec, s[0:1]
	s_cbranch_execnz .LBB8_421
.LBB8_417:
	s_or_b64 exec, exec, s[26:27]
	s_and_saveexec_b64 s[26:27], s[24:25]
	s_cbranch_execnz .LBB8_422
.LBB8_418:
	s_or_b64 exec, exec, s[26:27]
	s_and_saveexec_b64 s[0:1], s[22:23]
	s_cbranch_execnz .LBB8_423
.LBB8_419:
	s_endpgm
.LBB8_420:
	s_add_u32 s8, s40, 0x58
	s_addc_u32 s9, s41, 0
	s_getpc_b64 s[0:1]
	s_add_u32 s0, s0, .str.11@rel32@lo+4
	s_addc_u32 s1, s1, .str.11@rel32@hi+12
	s_getpc_b64 s[2:3]
	s_add_u32 s2, s2, .str.1@rel32@lo+4
	s_addc_u32 s3, s3, .str.1@rel32@hi+12
	s_getpc_b64 s[4:5]
	s_add_u32 s4, s4, __PRETTY_FUNCTION__._Z15factorFromTruthPKiS0_PyPiS2_S2_PKjS4_S0_S4_i@rel32@lo+4
	s_addc_u32 s5, s5, __PRETTY_FUNCTION__._Z15factorFromTruthPKiS0_PyPiS2_S2_PKjS4_S0_S4_i@rel32@hi+12
	s_getpc_b64 s[6:7]
	s_add_u32 s6, s6, __assert_fail@rel32@lo+4
	s_addc_u32 s7, s7, __assert_fail@rel32@hi+12
	v_mov_b32_e32 v0, s0
	v_mov_b32_e32 v1, s1
	;; [unrolled: 1-line block ×7, first 2 shown]
	s_swappc_b64 s[30:31], s[6:7]
	s_or_b64 s[22:23], s[22:23], exec
	s_or_b64 exec, exec, s[26:27]
	s_and_saveexec_b64 s[0:1], s[28:29]
	s_xor_b64 s[26:27], exec, s[0:1]
	s_cbranch_execz .LBB8_417
.LBB8_421:
	s_add_u32 s8, s40, 0x58
	s_addc_u32 s9, s41, 0
	s_getpc_b64 s[0:1]
	s_add_u32 s0, s0, .str.14@rel32@lo+4
	s_addc_u32 s1, s1, .str.14@rel32@hi+12
	s_getpc_b64 s[2:3]
	s_add_u32 s2, s2, .str.1@rel32@lo+4
	s_addc_u32 s3, s3, .str.1@rel32@hi+12
	s_getpc_b64 s[4:5]
	s_add_u32 s4, s4, __PRETTY_FUNCTION__._Z15factorFromTruthPKiS0_PyPiS2_S2_PKjS4_S0_S4_i@rel32@lo+4
	s_addc_u32 s5, s5, __PRETTY_FUNCTION__._Z15factorFromTruthPKiS0_PyPiS2_S2_PKjS4_S0_S4_i@rel32@hi+12
	s_getpc_b64 s[6:7]
	s_add_u32 s6, s6, __assert_fail@rel32@lo+4
	s_addc_u32 s7, s7, __assert_fail@rel32@hi+12
	v_mov_b32_e32 v0, s0
	v_mov_b32_e32 v1, s1
	v_mov_b32_e32 v2, s2
	v_mov_b32_e32 v3, s3
	v_mov_b32_e32 v4, 0x127
	v_mov_b32_e32 v5, s4
	v_mov_b32_e32 v6, s5
	s_swappc_b64 s[30:31], s[6:7]
	s_or_b64 s[22:23], s[22:23], exec
	s_or_b64 exec, exec, s[26:27]
	s_and_saveexec_b64 s[26:27], s[24:25]
	s_cbranch_execz .LBB8_418
.LBB8_422:
	s_add_u32 s8, s40, 0x58
	s_addc_u32 s9, s41, 0
	s_getpc_b64 s[0:1]
	s_add_u32 s0, s0, .str.18@rel32@lo+4
	s_addc_u32 s1, s1, .str.18@rel32@hi+12
	s_getpc_b64 s[2:3]
	s_add_u32 s2, s2, .str.19@rel32@lo+4
	s_addc_u32 s3, s3, .str.19@rel32@hi+12
	s_getpc_b64 s[4:5]
	s_add_u32 s4, s4, __PRETTY_FUNCTION__._ZN7VecsMemIjLi8192EE6shrinkEi@rel32@lo+4
	s_addc_u32 s5, s5, __PRETTY_FUNCTION__._ZN7VecsMemIjLi8192EE6shrinkEi@rel32@hi+12
	s_getpc_b64 s[6:7]
	s_add_u32 s6, s6, __assert_fail@rel32@lo+4
	s_addc_u32 s7, s7, __assert_fail@rel32@hi+12
	v_mov_b32_e32 v0, s0
	v_mov_b32_e32 v1, s1
	;; [unrolled: 1-line block ×7, first 2 shown]
	s_swappc_b64 s[30:31], s[6:7]
	s_or_b64 s[22:23], s[22:23], exec
	s_or_b64 exec, exec, s[26:27]
	s_and_saveexec_b64 s[0:1], s[22:23]
	s_cbranch_execz .LBB8_419
.LBB8_423:
	; divergent unreachable
	s_endpgm
	.section	.rodata,"a",@progbits
	.p2align	6, 0x0
	.amdhsa_kernel _Z15factorFromTruthPKiS0_PyPiS2_S2_PKjS4_S0_S4_i
		.amdhsa_group_segment_fixed_size 0
		.amdhsa_private_segment_fixed_size 35200
		.amdhsa_kernarg_size 344
		.amdhsa_user_sgpr_count 2
		.amdhsa_user_sgpr_dispatch_ptr 0
		.amdhsa_user_sgpr_queue_ptr 0
		.amdhsa_user_sgpr_kernarg_segment_ptr 1
		.amdhsa_user_sgpr_dispatch_id 0
		.amdhsa_user_sgpr_kernarg_preload_length 0
		.amdhsa_user_sgpr_kernarg_preload_offset 0
		.amdhsa_user_sgpr_private_segment_size 0
		.amdhsa_uses_dynamic_stack 1
		.amdhsa_enable_private_segment 1
		.amdhsa_system_sgpr_workgroup_id_x 1
		.amdhsa_system_sgpr_workgroup_id_y 0
		.amdhsa_system_sgpr_workgroup_id_z 0
		.amdhsa_system_sgpr_workgroup_info 0
		.amdhsa_system_vgpr_workitem_id 0
		.amdhsa_next_free_vgpr 94
		.amdhsa_next_free_sgpr 100
		.amdhsa_accum_offset 96
		.amdhsa_reserve_vcc 1
		.amdhsa_float_round_mode_32 0
		.amdhsa_float_round_mode_16_64 0
		.amdhsa_float_denorm_mode_32 3
		.amdhsa_float_denorm_mode_16_64 3
		.amdhsa_dx10_clamp 1
		.amdhsa_ieee_mode 1
		.amdhsa_fp16_overflow 0
		.amdhsa_tg_split 0
		.amdhsa_exception_fp_ieee_invalid_op 0
		.amdhsa_exception_fp_denorm_src 0
		.amdhsa_exception_fp_ieee_div_zero 0
		.amdhsa_exception_fp_ieee_overflow 0
		.amdhsa_exception_fp_ieee_underflow 0
		.amdhsa_exception_fp_ieee_inexact 0
		.amdhsa_exception_int_div_zero 0
	.end_amdhsa_kernel
	.text
.Lfunc_end8:
	.size	_Z15factorFromTruthPKiS0_PyPiS2_S2_PKjS4_S0_S4_i, .Lfunc_end8-_Z15factorFromTruthPKiS0_PyPiS2_S2_PKjS4_S0_S4_i
                                        ; -- End function
	.set _Z15factorFromTruthPKiS0_PyPiS2_S2_PKjS4_S0_S4_i.num_vgpr, max(94, .L__assert_fail.num_vgpr, .L_ZN3sop13minatoIsopRecEPKjS1_iPNS_3SopEP7VecsMemIjLi8192EE.num_vgpr, .L_ZN3sop12sopFactorRecEPNS_3SopEiP7VecsMemIjLi8192EEPN8subgUtil4SubgILi256EEE.num_vgpr)
	.set _Z15factorFromTruthPKiS0_PyPiS2_S2_PKjS4_S0_S4_i.num_agpr, max(0, .L__assert_fail.num_agpr, .L_ZN3sop13minatoIsopRecEPKjS1_iPNS_3SopEP7VecsMemIjLi8192EE.num_agpr, .L_ZN3sop12sopFactorRecEPNS_3SopEiP7VecsMemIjLi8192EEPN8subgUtil4SubgILi256EEE.num_agpr)
	.set _Z15factorFromTruthPKiS0_PyPiS2_S2_PKjS4_S0_S4_i.numbered_sgpr, max(100, .L__assert_fail.numbered_sgpr, .L_ZN3sop13minatoIsopRecEPKjS1_iPNS_3SopEP7VecsMemIjLi8192EE.numbered_sgpr, .L_ZN3sop12sopFactorRecEPNS_3SopEiP7VecsMemIjLi8192EEPN8subgUtil4SubgILi256EEE.numbered_sgpr)
	.set _Z15factorFromTruthPKiS0_PyPiS2_S2_PKjS4_S0_S4_i.num_named_barrier, max(0, .L__assert_fail.num_named_barrier, .L_ZN3sop13minatoIsopRecEPKjS1_iPNS_3SopEP7VecsMemIjLi8192EE.num_named_barrier, .L_ZN3sop12sopFactorRecEPNS_3SopEiP7VecsMemIjLi8192EEPN8subgUtil4SubgILi256EEE.num_named_barrier)
	.set _Z15factorFromTruthPKiS0_PyPiS2_S2_PKjS4_S0_S4_i.private_seg_size, 34864+max(.L__assert_fail.private_seg_size, .L_ZN3sop13minatoIsopRecEPKjS1_iPNS_3SopEP7VecsMemIjLi8192EE.private_seg_size, .L_ZN3sop12sopFactorRecEPNS_3SopEiP7VecsMemIjLi8192EEPN8subgUtil4SubgILi256EEE.private_seg_size)
	.set _Z15factorFromTruthPKiS0_PyPiS2_S2_PKjS4_S0_S4_i.uses_vcc, or(1, .L__assert_fail.uses_vcc, .L_ZN3sop13minatoIsopRecEPKjS1_iPNS_3SopEP7VecsMemIjLi8192EE.uses_vcc, .L_ZN3sop12sopFactorRecEPNS_3SopEiP7VecsMemIjLi8192EEPN8subgUtil4SubgILi256EEE.uses_vcc)
	.set _Z15factorFromTruthPKiS0_PyPiS2_S2_PKjS4_S0_S4_i.uses_flat_scratch, or(0, .L__assert_fail.uses_flat_scratch, .L_ZN3sop13minatoIsopRecEPKjS1_iPNS_3SopEP7VecsMemIjLi8192EE.uses_flat_scratch, .L_ZN3sop12sopFactorRecEPNS_3SopEiP7VecsMemIjLi8192EEPN8subgUtil4SubgILi256EEE.uses_flat_scratch)
	.set _Z15factorFromTruthPKiS0_PyPiS2_S2_PKjS4_S0_S4_i.has_dyn_sized_stack, or(0, .L__assert_fail.has_dyn_sized_stack, .L_ZN3sop13minatoIsopRecEPKjS1_iPNS_3SopEP7VecsMemIjLi8192EE.has_dyn_sized_stack, .L_ZN3sop12sopFactorRecEPNS_3SopEiP7VecsMemIjLi8192EEPN8subgUtil4SubgILi256EEE.has_dyn_sized_stack)
	.set _Z15factorFromTruthPKiS0_PyPiS2_S2_PKjS4_S0_S4_i.has_recursion, or(1, .L__assert_fail.has_recursion, .L_ZN3sop13minatoIsopRecEPKjS1_iPNS_3SopEP7VecsMemIjLi8192EE.has_recursion, .L_ZN3sop12sopFactorRecEPNS_3SopEiP7VecsMemIjLi8192EEPN8subgUtil4SubgILi256EEE.has_recursion)
	.set _Z15factorFromTruthPKiS0_PyPiS2_S2_PKjS4_S0_S4_i.has_indirect_call, or(0, .L__assert_fail.has_indirect_call, .L_ZN3sop13minatoIsopRecEPKjS1_iPNS_3SopEP7VecsMemIjLi8192EE.has_indirect_call, .L_ZN3sop12sopFactorRecEPNS_3SopEiP7VecsMemIjLi8192EEPN8subgUtil4SubgILi256EEE.has_indirect_call)
	.section	.AMDGPU.csdata,"",@progbits
; Kernel info:
; codeLenInByte = 17012
; TotalNumSgprs: 106
; NumVgprs: 94
; NumAgprs: 0
; TotalNumVgprs: 94
; ScratchSize: 35200
; MemoryBound: 0
; FloatMode: 240
; IeeeMode: 1
; LDSByteSize: 0 bytes/workgroup (compile time only)
; SGPRBlocks: 13
; VGPRBlocks: 11
; NumSGPRsForWavesPerEU: 106
; NumVGPRsForWavesPerEU: 94
; AccumOffset: 96
; Occupancy: 5
; WaveLimiterHint : 1
; COMPUTE_PGM_RSRC2:SCRATCH_EN: 1
; COMPUTE_PGM_RSRC2:USER_SGPR: 2
; COMPUTE_PGM_RSRC2:TRAP_HANDLER: 0
; COMPUTE_PGM_RSRC2:TGID_X_EN: 1
; COMPUTE_PGM_RSRC2:TGID_Y_EN: 0
; COMPUTE_PGM_RSRC2:TGID_Z_EN: 0
; COMPUTE_PGM_RSRC2:TIDIG_COMP_CNT: 0
; COMPUTE_PGM_RSRC3_GFX90A:ACCUM_OFFSET: 23
; COMPUTE_PGM_RSRC3_GFX90A:TG_SPLIT: 0
	.text
	.p2alignl 6, 3212836864
	.fill 256, 4, 3212836864
	.section	.AMDGPU.gpr_maximums,"",@progbits
	.set amdgpu.max_num_vgpr, 90
	.set amdgpu.max_num_agpr, 0
	.set amdgpu.max_num_sgpr, 100
	.text
	.type	__const.__assert_fail.fmt,@object ; @__const.__assert_fail.fmt
	.section	.rodata.str1.16,"aMS",@progbits,1
	.p2align	4, 0x0
__const.__assert_fail.fmt:
	.asciz	"%s:%u: %s: Device-side assertion `%s' failed.\n"
	.size	__const.__assert_fail.fmt, 47

	.type	.str,@object                    ; @.str
	.section	.rodata.str1.1,"aMS",@progbits,1
.str:
	.asciz	"lit0 < lit1"
	.size	.str, 12

	.type	.str.1,@object                  ; @.str.1
.str.1:
	.asciz	"/root/src/amdgpu-assembly/repos/zjin-lcf__HeCBench/src/logic-rewrite-hip/refactor_core.cu"
	.size	.str.1, 90

	.type	__PRETTY_FUNCTION__._Z12evaluateSubgiPiPKiiiiS1_PKyPKjiPKN8subgUtil4SubgILi256EEE,@object ; @__PRETTY_FUNCTION__._Z12evaluateSubgiPiPKiiiiS1_PKyPKjiPKN8subgUtil4SubgILi256EEE
__PRETTY_FUNCTION__._Z12evaluateSubgiPiPKiiiiS1_PKyPKjiPKN8subgUtil4SubgILi256EEE:
	.asciz	"int evaluateSubg(int, int *, const int *, int, int, int, const int *, const uint64 *, const uint32 *, int, const subgUtil::Subg<SUBG_CAP> *)"
	.size	__PRETTY_FUNCTION__._Z12evaluateSubgiPiPKiiiiS1_PKyPKjiPKN8subgUtil4SubgILi256EEE, 141

	.type	.str.2,@object                  ; @.str.2
.str.2:
	.asciz	"id0 < i && id1 < i"
	.size	.str.2, 19

	.type	.str.7,@object                  ; @.str.7
.str.7:
	.asciz	"endIdx - startIdx == nWords"
	.size	.str.7, 28

	.type	__PRETTY_FUNCTION__._Z8resynCutPKiS0_S0_S0_PKyPKjiS0_PyPiS6_S6_PjS0_S4_ii,@object ; @__PRETTY_FUNCTION__._Z8resynCutPKiS0_S0_S0_PKyPKjiS0_PyPiS6_S6_PjS0_S4_ii
__PRETTY_FUNCTION__._Z8resynCutPKiS0_S0_S0_PKyPKjiS0_PyPiS6_S6_PjS0_S4_ii:
	.asciz	"void resynCut(const int *, const int *, const int *, const int *, const uint64 *, const uint32 *, int, const int *, uint64 *, int *, int *, int *, unsigned int *, const int *, const unsigned int *, int, int)"
	.size	__PRETTY_FUNCTION__._Z8resynCutPKiS0_S0_S0_PKyPKjiS0_PyPiS6_S6_PjS0_S4_ii, 208

	.type	.str.8,@object                  ; @.str.8
.str.8:
	.asciz	"vSubgLens[idx] > 0"
	.size	.str.8, 19

	.type	.str.9,@object                  ; @.str.9
.str.9:
	.asciz	"vSubgLinks[idx] == -1"
	.size	.str.9, 22

	.type	.str.10,@object                 ; @.str.10
.str.10:
	.asciz	"currRowIdx < 2 * nResyn - 1"
	.size	.str.10, 28

	.type	.str.11,@object                 ; @.str.11
.str.11:
	.asciz	"vSubgLinks[currRowIdx] == -1"
	.size	.str.11, 29

	.type	.str.12,@object                 ; @.str.12
.str.12:
	.asciz	"truthEndIdx - truthStartIdx == dUtils::TruthWordNum(nVars)"
	.size	.str.12, 59

	.type	__PRETTY_FUNCTION__._Z15factorFromTruthPKiS0_PyPiS2_S2_PKjS4_S0_S4_i,@object ; @__PRETTY_FUNCTION__._Z15factorFromTruthPKiS0_PyPiS2_S2_PKjS4_S0_S4_i
__PRETTY_FUNCTION__._Z15factorFromTruthPKiS0_PyPiS2_S2_PKjS4_S0_S4_i:
	.asciz	"void factorFromTruth(const int *, const int *, uint64 *, int *, int *, int *, const unsigned int *, const unsigned int *, const int *, const unsigned int *, int)"
	.size	__PRETTY_FUNCTION__._Z15factorFromTruthPKiS0_PyPiS2_S2_PKjS4_S0_S4_i, 162

	.type	.str.13,@object                 ; @.str.13
.str.13:
	.asciz	"vSubgLens[currRowIdx] > 0"
	.size	.str.13, 26

	.type	.str.14,@object                 ; @.str.14
.str.14:
	.asciz	"currRowIdx < 4 * nResyn - 1"
	.size	.str.14, 28

	.type	.str.15,@object                 ; @.str.15
.str.15:
	.asciz	"truthUtil::truthEqual(puTruth, pResult, nVars)"
	.size	.str.15, 47

	.type	.str.16,@object                 ; @.str.16
.str.16:
	.asciz	"/root/src/amdgpu-assembly/repos/zjin-lcf__HeCBench/src/logic-rewrite-hip/minato_isop.cuh"
	.size	.str.16, 89

	.type	__PRETTY_FUNCTION__._ZN3sop10minatoIsopEPKjiP7VecsMemIjLi8192EE,@object ; @__PRETTY_FUNCTION__._ZN3sop10minatoIsopEPKjiP7VecsMemIjLi8192EE
__PRETTY_FUNCTION__._ZN3sop10minatoIsopEPKjiP7VecsMemIjLi8192EE:
	.asciz	"void sop::minatoIsop(const unsigned int *, int, VecsMem<unsigned int, ISOP_FACTOR_MEM_CAP> *)"
	.size	__PRETTY_FUNCTION__._ZN3sop10minatoIsopEPKjiP7VecsMemIjLi8192EE, 94

	.type	.str.17,@object                 ; @.str.17
.str.17:
	.asciz	"pTemp != NULL"
	.size	.str.17, 14

	.type	.str.18,@object                 ; @.str.18
.str.18:
	.asciz	"nSize >= nSizeNew"
	.size	.str.18, 18

	.type	.str.19,@object                 ; @.str.19
.str.19:
	.asciz	"/root/src/amdgpu-assembly/repos/zjin-lcf__HeCBench/src/logic-rewrite-hip/vectors.cuh"
	.size	.str.19, 85

	.type	__PRETTY_FUNCTION__._ZN7VecsMemIjLi8192EE6shrinkEi,@object ; @__PRETTY_FUNCTION__._ZN7VecsMemIjLi8192EE6shrinkEi
__PRETTY_FUNCTION__._ZN7VecsMemIjLi8192EE6shrinkEi:
	.asciz	"void VecsMem<unsigned int, 8192>::shrink(int) [T = unsigned int, nCap = 8192]"
	.size	__PRETTY_FUNCTION__._ZN7VecsMemIjLi8192EE6shrinkEi, 78

	.type	__PRETTY_FUNCTION__._ZN3sop13minatoIsopRecEPKjS1_iPNS_3SopEP7VecsMemIjLi8192EE,@object ; @__PRETTY_FUNCTION__._ZN3sop13minatoIsopRecEPKjS1_iPNS_3SopEP7VecsMemIjLi8192EE
__PRETTY_FUNCTION__._ZN3sop13minatoIsopRecEPKjS1_iPNS_3SopEP7VecsMemIjLi8192EE:
	.asciz	"unsigned int *sop::minatoIsopRec(const unsigned int *, const unsigned int *, int, Sop *, VecsMem<unsigned int, ISOP_FACTOR_MEM_CAP> *)"
	.size	__PRETTY_FUNCTION__._ZN3sop13minatoIsopRecEPKjS1_iPNS_3SopEP7VecsMemIjLi8192EE, 135

	.type	.str.20,@object                 ; @.str.20
.str.20:
	.asciz	"pcRes->pCubes != NULL"
	.size	.str.20, 22

	.type	.str.21,@object                 ; @.str.21
.str.21:
	.asciz	"Var >= 0"
	.size	.str.21, 9

	.type	.str.23,@object                 ; @.str.23
.str.23:
	.asciz	"k == pcRes->nCubes"
	.size	.str.23, 19

	.type	__const._ZN3sop14minatoIsop5RecEjjiPNS_3SopEP7VecsMemIjLi8192EE.uMasks,@object ; @__const._ZN3sop14minatoIsop5RecEjjiPNS_3SopEP7VecsMemIjLi8192EE.uMasks
	.section	.rodata,"a",@progbits
	.p2align	4, 0x0
__const._ZN3sop14minatoIsop5RecEjjiPNS_3SopEP7VecsMemIjLi8192EE.uMasks:
	.long	2863311530                      ; 0xaaaaaaaa
	.long	3435973836                      ; 0xcccccccc
	;; [unrolled: 1-line block ×5, first 2 shown]
	.size	__const._ZN3sop14minatoIsop5RecEjjiPNS_3SopEP7VecsMemIjLi8192EE.uMasks, 20

	.type	__PRETTY_FUNCTION__._ZN3sop14minatoIsop5RecEjjiPNS_3SopEP7VecsMemIjLi8192EE,@object ; @__PRETTY_FUNCTION__._ZN3sop14minatoIsop5RecEjjiPNS_3SopEP7VecsMemIjLi8192EE
	.section	.rodata.str1.1,"aMS",@progbits,1
__PRETTY_FUNCTION__._ZN3sop14minatoIsop5RecEjjiPNS_3SopEP7VecsMemIjLi8192EE:
	.asciz	"unsigned int sop::minatoIsop5Rec(unsigned int, unsigned int, int, Sop *, VecsMem<unsigned int, ISOP_FACTOR_MEM_CAP> *)"
	.size	__PRETTY_FUNCTION__._ZN3sop14minatoIsop5RecEjjiPNS_3SopEP7VecsMemIjLi8192EE, 119

	.type	.str.27,@object                 ; @.str.27
.str.27:
	.asciz	"(uOn & ~uOnDc) == 0"
	.size	.str.27, 20

	.type	.str.28,@object                 ; @.str.28
.str.28:
	.asciz	"try to decrease K in refactor !!!\n"
	.size	.str.28, 35

	.type	.str.29,@object                 ; @.str.29
.str.29:
	.asciz	"0"
	.size	.str.29, 2

	.type	__PRETTY_FUNCTION__._ZN7VecsMemIjLi8192EE5fetchEi,@object ; @__PRETTY_FUNCTION__._ZN7VecsMemIjLi8192EE5fetchEi
__PRETTY_FUNCTION__._ZN7VecsMemIjLi8192EE5fetchEi:
	.asciz	"T *VecsMem<unsigned int, 8192>::fetch(int) [T = unsigned int, nCap = 8192]"
	.size	__PRETTY_FUNCTION__._ZN7VecsMemIjLi8192EE5fetchEi, 75

	.type	.str.30,@object                 ; @.str.30
.str.30:
	.asciz	"nVars < 16"
	.size	.str.30, 11

	.type	.str.31,@object                 ; @.str.31
.str.31:
	.asciz	"/root/src/amdgpu-assembly/repos/zjin-lcf__HeCBench/src/logic-rewrite-hip/alg_factor.cuh"
	.size	.str.31, 88

	.type	__PRETTY_FUNCTION__._ZN3sop9sopFactorEPjiiPKiiP7VecsMemIjLi8192EEPN8subgUtil4SubgILi256EEE,@object ; @__PRETTY_FUNCTION__._ZN3sop9sopFactorEPjiiPKiiP7VecsMemIjLi8192EEPN8subgUtil4SubgILi256EEE
__PRETTY_FUNCTION__._ZN3sop9sopFactorEPjiiPKiiP7VecsMemIjLi8192EEPN8subgUtil4SubgILi256EEE:
	.asciz	"void sop::sopFactor(unsigned int *, int, int, const int *, int, VecsMem<unsigned int, ISOP_FACTOR_MEM_CAP> *, subgUtil::Subg<SUBG_CAP> *)"
	.size	__PRETTY_FUNCTION__._ZN3sop9sopFactorEPjiiPKiiP7VecsMemIjLi8192EEPN8subgUtil4SubgILi256EEE, 138

	.type	.str.32,@object                 ; @.str.32
.str.32:
	.asciz	"subg->nSize == nVars"
	.size	.str.32, 21

	.type	.str.33,@object                 ; @.str.33
.str.33:
	.asciz	"cSop->nCubes > 0"
	.size	.str.33, 17

	.type	__PRETTY_FUNCTION__._ZN3sop12sopFactorRecEPNS_3SopEiP7VecsMemIjLi8192EEPN8subgUtil4SubgILi256EEE,@object ; @__PRETTY_FUNCTION__._ZN3sop12sopFactorRecEPNS_3SopEiP7VecsMemIjLi8192EEPN8subgUtil4SubgILi256EEE
__PRETTY_FUNCTION__._ZN3sop12sopFactorRecEPNS_3SopEiP7VecsMemIjLi8192EEPN8subgUtil4SubgILi256EEE:
	.asciz	"int sop::sopFactorRec(Sop *, int, VecsMem<unsigned int, ISOP_FACTOR_MEM_CAP> *, subgUtil::Subg<SUBG_CAP> *)"
	.size	__PRETTY_FUNCTION__._ZN3sop12sopFactorRecEPNS_3SopEiP7VecsMemIjLi8192EEPN8subgUtil4SubgILi256EEE, 108

	.type	.str.34,@object                 ; @.str.34
.str.34:
	.asciz	"cQuo->nCubes > 0"
	.size	.str.34, 17

	.type	.str.35,@object                 ; @.str.35
.str.35:
	.asciz	"cResult->nCubes > 0"
	.size	.str.35, 20

	.type	__PRETTY_FUNCTION__._ZN3sop10sopDivisorEPNS_3SopES1_iP7VecsMemIjLi8192EE,@object ; @__PRETTY_FUNCTION__._ZN3sop10sopDivisorEPNS_3SopES1_iP7VecsMemIjLi8192EE
__PRETTY_FUNCTION__._ZN3sop10sopDivisorEPNS_3SopES1_iP7VecsMemIjLi8192EE:
	.asciz	"int sop::sopDivisor(Sop *, Sop *, int, VecsMem<unsigned int, ISOP_FACTOR_MEM_CAP> *)"
	.size	__PRETTY_FUNCTION__._ZN3sop10sopDivisorEPNS_3SopES1_iP7VecsMemIjLi8192EE, 85

	.type	.str.36,@object                 ; @.str.36
.str.36:
	.asciz	"uCube"
	.size	.str.36, 6

	.type	__PRETTY_FUNCTION__._ZN3sop23sopFactorTrivialCubeRecEjiiPN8subgUtil4SubgILi256EEE,@object ; @__PRETTY_FUNCTION__._ZN3sop23sopFactorTrivialCubeRecEjiiPN8subgUtil4SubgILi256EEE
__PRETTY_FUNCTION__._ZN3sop23sopFactorTrivialCubeRecEjiiPN8subgUtil4SubgILi256EEE:
	.asciz	"int sop::sopFactorTrivialCubeRec(unsigned int, int, int, subgUtil::Subg<SUBG_CAP> *)"
	.size	__PRETTY_FUNCTION__._ZN3sop23sopFactorTrivialCubeRecEjiiPN8subgUtil4SubgILi256EEE, 85

	.type	.str.37,@object                 ; @.str.37
.str.37:
	.asciz	"iLit != -1"
	.size	.str.37, 11

	.type	.str.38,@object                 ; @.str.38
.str.38:
	.asciz	"cSop->nCubes >= cDiv->nCubes"
	.size	.str.38, 29

	.type	__PRETTY_FUNCTION__._ZN3sop17sopDivideInternalEPNS_3SopES1_S1_S1_P7VecsMemIjLi8192EE,@object ; @__PRETTY_FUNCTION__._ZN3sop17sopDivideInternalEPNS_3SopES1_S1_S1_P7VecsMemIjLi8192EE
__PRETTY_FUNCTION__._ZN3sop17sopDivideInternalEPNS_3SopES1_S1_S1_P7VecsMemIjLi8192EE:
	.asciz	"void sop::sopDivideInternal(Sop *, Sop *, Sop *, Sop *, VecsMem<unsigned int, ISOP_FACTOR_MEM_CAP> *)"
	.size	__PRETTY_FUNCTION__._ZN3sop17sopDivideInternalEPNS_3SopES1_S1_S1_P7VecsMemIjLi8192EE, 102

	.type	.str.39,@object                 ; @.str.39
.str.39:
	.asciz	"i2 < cSop->nCubes"
	.size	.str.39, 18

	.type	.str.40,@object                 ; @.str.40
.str.40:
	.asciz	"nCubesRem == vRem->nCubes"
	.size	.str.40, 26

	.type	.str.43,@object                 ; @.str.43
.str.43:
	.asciz	"nSize < nCap"
	.size	.str.43, 13

	.type	.str.44,@object                 ; @.str.44
.str.44:
	.asciz	"/root/src/amdgpu-assembly/repos/zjin-lcf__HeCBench/src/logic-rewrite-hip/sop.cuh"
	.size	.str.44, 81

	.type	__PRETTY_FUNCTION__._ZN8subgUtil4SubgILi256EE10addNodeAndEii,@object ; @__PRETTY_FUNCTION__._ZN8subgUtil4SubgILi256EE10addNodeAndEii
__PRETTY_FUNCTION__._ZN8subgUtil4SubgILi256EE10addNodeAndEii:
	.asciz	"int subgUtil::Subg<256>::addNodeAnd(int, int) [nCap = 256]"
	.size	__PRETTY_FUNCTION__._ZN8subgUtil4SubgILi256EE10addNodeAndEii, 59

	.type	__PRETTY_FUNCTION__._ZN8subgUtil4SubgILi256EE9addNodeOrEii,@object ; @__PRETTY_FUNCTION__._ZN8subgUtil4SubgILi256EE9addNodeOrEii
__PRETTY_FUNCTION__._ZN8subgUtil4SubgILi256EE9addNodeOrEii:
	.asciz	"int subgUtil::Subg<256>::addNodeOr(int, int) [nCap = 256]"
	.size	__PRETTY_FUNCTION__._ZN8subgUtil4SubgILi256EE9addNodeOrEii, 58

	.type	.str.45,@object                 ; @.str.45
.str.45:
	.asciz	"%d %d\n"
	.size	.str.45, 7

	.type	__PRETTY_FUNCTION__._ZN3sop18sopCommonCubeCoverEPNS_3SopES1_P7VecsMemIjLi8192EE,@object ; @__PRETTY_FUNCTION__._ZN3sop18sopCommonCubeCoverEPNS_3SopES1_P7VecsMemIjLi8192EE
__PRETTY_FUNCTION__._ZN3sop18sopCommonCubeCoverEPNS_3SopES1_P7VecsMemIjLi8192EE:
	.asciz	"void sop::sopCommonCubeCover(Sop *, Sop *, VecsMem<unsigned int, ISOP_FACTOR_MEM_CAP> *)"
	.size	__PRETTY_FUNCTION__._ZN3sop18sopCommonCubeCoverEPNS_3SopES1_P7VecsMemIjLi8192EE, 89

	.type	.str.46,@object                 ; @.str.46
.str.46:
	.asciz	"lit1 >= 0 && lit2 >= 0 && (fComp == 0 || fComp == 1) && lit1 <= lit2"
	.size	.str.46, 69

	.type	__PRETTY_FUNCTION__._ZN8subgUtil18formAndNodeKeyFlagEiii,@object ; @__PRETTY_FUNCTION__._ZN8subgUtil18formAndNodeKeyFlagEiii
__PRETTY_FUNCTION__._ZN8subgUtil18formAndNodeKeyFlagEiii:
	.asciz	"uint64 subgUtil::formAndNodeKeyFlag(const int, const int, const int)"
	.size	__PRETTY_FUNCTION__._ZN8subgUtil18formAndNodeKeyFlagEiii, 69

	.type	__hip_cuid_d5e6747223b8adbf,@object ; @__hip_cuid_d5e6747223b8adbf
	.section	.bss,"aw",@nobits
	.globl	__hip_cuid_d5e6747223b8adbf
__hip_cuid_d5e6747223b8adbf:
	.byte	0                               ; 0x0
	.size	__hip_cuid_d5e6747223b8adbf, 1

	.ident	"AMD clang version 22.0.0git (https://github.com/RadeonOpenCompute/llvm-project roc-7.2.4 26084 f58b06dce1f9c15707c5f808fd002e18c2accf7e)"
	.section	".note.GNU-stack","",@progbits
	.addrsig
	.addrsig_sym __hip_cuid_d5e6747223b8adbf
	.amdgpu_metadata
---
amdhsa.kernels:
  - .agpr_count:     0
    .args:
      - .address_space:  global
        .offset:         0
        .size:           8
        .value_kind:     global_buffer
      - .address_space:  global
        .offset:         8
        .size:           8
        .value_kind:     global_buffer
      - .address_space:  global
        .offset:         16
        .size:           8
        .value_kind:     global_buffer
      - .address_space:  global
        .offset:         24
        .size:           8
        .value_kind:     global_buffer
      - .address_space:  global
        .offset:         32
        .size:           8
        .value_kind:     global_buffer
      - .address_space:  global
        .offset:         40
        .size:           8
        .value_kind:     global_buffer
      - .offset:         48
        .size:           4
        .value_kind:     by_value
      - .address_space:  global
        .offset:         56
        .size:           8
        .value_kind:     global_buffer
      - .address_space:  global
        .offset:         64
        .size:           8
        .value_kind:     global_buffer
      - .address_space:  global
        .offset:         72
        .size:           8
        .value_kind:     global_buffer
      - .address_space:  global
        .offset:         80
        .size:           8
        .value_kind:     global_buffer
      - .address_space:  global
        .offset:         88
        .size:           8
        .value_kind:     global_buffer
      - .address_space:  global
        .offset:         96
        .size:           8
        .value_kind:     global_buffer
      - .address_space:  global
        .offset:         104
        .size:           8
        .value_kind:     global_buffer
      - .address_space:  global
        .offset:         112
        .size:           8
        .value_kind:     global_buffer
      - .offset:         120
        .size:           4
        .value_kind:     by_value
      - .offset:         124
        .size:           4
        .value_kind:     by_value
      - .offset:         128
        .size:           4
        .value_kind:     hidden_block_count_x
      - .offset:         132
        .size:           4
        .value_kind:     hidden_block_count_y
      - .offset:         136
        .size:           4
        .value_kind:     hidden_block_count_z
      - .offset:         140
        .size:           2
        .value_kind:     hidden_group_size_x
      - .offset:         142
        .size:           2
        .value_kind:     hidden_group_size_y
      - .offset:         144
        .size:           2
        .value_kind:     hidden_group_size_z
      - .offset:         146
        .size:           2
        .value_kind:     hidden_remainder_x
      - .offset:         148
        .size:           2
        .value_kind:     hidden_remainder_y
      - .offset:         150
        .size:           2
        .value_kind:     hidden_remainder_z
      - .offset:         168
        .size:           8
        .value_kind:     hidden_global_offset_x
      - .offset:         176
        .size:           8
        .value_kind:     hidden_global_offset_y
      - .offset:         184
        .size:           8
        .value_kind:     hidden_global_offset_z
      - .offset:         192
        .size:           2
        .value_kind:     hidden_grid_dims
      - .offset:         208
        .size:           8
        .value_kind:     hidden_hostcall_buffer
    .group_segment_fixed_size: 0
    .kernarg_segment_align: 8
    .kernarg_segment_size: 384
    .language:       OpenCL C
    .language_version:
      - 2
      - 0
    .max_flat_workgroup_size: 1024
    .name:           _Z8resynCutPKiS0_S0_S0_PKyPKjiS0_PyPiS6_S6_PjS0_S4_ii
    .private_segment_fixed_size: 41408
    .sgpr_count:     106
    .sgpr_spill_count: 269
    .symbol:         _Z8resynCutPKiS0_S0_S0_PKyPKjiS0_PyPiS6_S6_PjS0_S4_ii.kd
    .uniform_work_group_size: 1
    .uses_dynamic_stack: true
    .vgpr_count:     110
    .vgpr_spill_count: 0
    .wavefront_size: 64
  - .agpr_count:     0
    .args:
      - .address_space:  global
        .offset:         0
        .size:           8
        .value_kind:     global_buffer
      - .address_space:  global
        .offset:         8
        .size:           8
        .value_kind:     global_buffer
      - .address_space:  global
        .offset:         16
        .size:           8
        .value_kind:     global_buffer
      - .address_space:  global
        .offset:         24
        .size:           8
        .value_kind:     global_buffer
      - .address_space:  global
        .offset:         32
        .size:           8
        .value_kind:     global_buffer
      - .address_space:  global
        .offset:         40
        .size:           8
        .value_kind:     global_buffer
      - .address_space:  global
        .offset:         48
        .size:           8
        .value_kind:     global_buffer
      - .address_space:  global
        .offset:         56
        .size:           8
        .value_kind:     global_buffer
      - .address_space:  global
        .offset:         64
        .size:           8
        .value_kind:     global_buffer
      - .address_space:  global
        .offset:         72
        .size:           8
        .value_kind:     global_buffer
      - .offset:         80
        .size:           4
        .value_kind:     by_value
      - .offset:         88
        .size:           4
        .value_kind:     hidden_block_count_x
      - .offset:         92
        .size:           4
        .value_kind:     hidden_block_count_y
      - .offset:         96
        .size:           4
        .value_kind:     hidden_block_count_z
      - .offset:         100
        .size:           2
        .value_kind:     hidden_group_size_x
      - .offset:         102
        .size:           2
        .value_kind:     hidden_group_size_y
      - .offset:         104
        .size:           2
        .value_kind:     hidden_group_size_z
      - .offset:         106
        .size:           2
        .value_kind:     hidden_remainder_x
      - .offset:         108
        .size:           2
        .value_kind:     hidden_remainder_y
      - .offset:         110
        .size:           2
        .value_kind:     hidden_remainder_z
      - .offset:         128
        .size:           8
        .value_kind:     hidden_global_offset_x
      - .offset:         136
        .size:           8
        .value_kind:     hidden_global_offset_y
      - .offset:         144
        .size:           8
        .value_kind:     hidden_global_offset_z
      - .offset:         152
        .size:           2
        .value_kind:     hidden_grid_dims
      - .offset:         168
        .size:           8
        .value_kind:     hidden_hostcall_buffer
    .group_segment_fixed_size: 0
    .kernarg_segment_align: 8
    .kernarg_segment_size: 344
    .language:       OpenCL C
    .language_version:
      - 2
      - 0
    .max_flat_workgroup_size: 1024
    .name:           _Z15factorFromTruthPKiS0_PyPiS2_S2_PKjS4_S0_S4_i
    .private_segment_fixed_size: 35200
    .sgpr_count:     106
    .sgpr_spill_count: 59
    .symbol:         _Z15factorFromTruthPKiS0_PyPiS2_S2_PKjS4_S0_S4_i.kd
    .uniform_work_group_size: 1
    .uses_dynamic_stack: true
    .vgpr_count:     94
    .vgpr_spill_count: 0
    .wavefront_size: 64
amdhsa.target:   amdgcn-amd-amdhsa--gfx950
amdhsa.version:
  - 1
  - 2
...

	.end_amdgpu_metadata
